;; amdgpu-corpus repo=ROCm/rocFFT kind=compiled arch=gfx1201 opt=O3
	.text
	.amdgcn_target "amdgcn-amd-amdhsa--gfx1201"
	.amdhsa_code_object_version 6
	.protected	bluestein_single_fwd_len396_dim1_half_op_CI_CI ; -- Begin function bluestein_single_fwd_len396_dim1_half_op_CI_CI
	.globl	bluestein_single_fwd_len396_dim1_half_op_CI_CI
	.p2align	8
	.type	bluestein_single_fwd_len396_dim1_half_op_CI_CI,@function
bluestein_single_fwd_len396_dim1_half_op_CI_CI: ; @bluestein_single_fwd_len396_dim1_half_op_CI_CI
; %bb.0:
	s_load_b128 s[8:11], s[0:1], 0x28
	v_mul_u32_u24_e32 v1, 0x5d2, v0
	s_mov_b32 s2, exec_lo
	v_mov_b32_e32 v18, 0
	s_delay_alu instid0(VALU_DEP_2) | instskip(NEXT) | instid1(VALU_DEP_1)
	v_lshrrev_b32_e32 v1, 16, v1
	v_add_nc_u32_e32 v17, ttmp9, v1
	s_wait_kmcnt 0x0
	s_delay_alu instid0(VALU_DEP_1)
	v_cmpx_gt_u64_e64 s[8:9], v[17:18]
	s_cbranch_execz .LBB0_23
; %bb.1:
	s_clause 0x1
	s_load_b64 s[12:13], s[0:1], 0x0
	s_load_b64 s[8:9], s[0:1], 0x38
	v_mul_lo_u16 v1, v1, 44
	s_delay_alu instid0(VALU_DEP_1) | instskip(NEXT) | instid1(VALU_DEP_1)
	v_sub_nc_u16 v0, v0, v1
	v_and_b32_e32 v33, 0xffff, v0
	v_cmp_gt_u16_e32 vcc_lo, 36, v0
	s_delay_alu instid0(VALU_DEP_2)
	v_lshlrev_b32_e32 v32, 2, v33
	s_and_saveexec_b32 s3, vcc_lo
	s_cbranch_execz .LBB0_3
; %bb.2:
	s_load_b64 s[4:5], s[0:1], 0x18
	s_wait_kmcnt 0x0
	s_load_b128 s[4:7], s[4:5], 0x0
	s_wait_kmcnt 0x0
	v_mad_co_u64_u32 v[0:1], null, s6, v17, 0
	v_mad_co_u64_u32 v[2:3], null, s4, v33, 0
	s_delay_alu instid0(VALU_DEP_1) | instskip(NEXT) | instid1(VALU_DEP_1)
	v_mad_co_u64_u32 v[4:5], null, s7, v17, v[1:2]
	v_mad_co_u64_u32 v[5:6], null, s5, v33, v[3:4]
	v_mov_b32_e32 v1, v4
	s_mul_u64 s[4:5], s[4:5], 0x90
	s_clause 0x7
	global_load_b32 v6, v32, s[12:13]
	global_load_b32 v7, v32, s[12:13] offset:144
	global_load_b32 v8, v32, s[12:13] offset:288
	;; [unrolled: 1-line block ×7, first 2 shown]
	v_lshlrev_b64_e32 v[0:1], 2, v[0:1]
	v_mov_b32_e32 v3, v5
	s_delay_alu instid0(VALU_DEP_2) | instskip(NEXT) | instid1(VALU_DEP_2)
	v_add_co_u32 v0, s2, s10, v0
	v_lshlrev_b64_e32 v[2:3], 2, v[2:3]
	s_delay_alu instid0(VALU_DEP_4) | instskip(NEXT) | instid1(VALU_DEP_2)
	v_add_co_ci_u32_e64 v1, s2, s11, v1, s2
	v_add_co_u32 v0, s2, v0, v2
	s_wait_alu 0xf1ff
	s_delay_alu instid0(VALU_DEP_2)
	v_add_co_ci_u32_e64 v1, s2, v1, v3, s2
	global_load_b32 v14, v[0:1], off
	s_wait_alu 0xfffe
	v_add_co_u32 v0, s2, v0, s4
	s_wait_alu 0xf1ff
	v_add_co_ci_u32_e64 v1, s2, s5, v1, s2
	s_clause 0x2
	global_load_b32 v15, v32, s[12:13] offset:1152
	global_load_b32 v16, v32, s[12:13] offset:1296
	;; [unrolled: 1-line block ×3, first 2 shown]
	v_add_co_u32 v2, s2, v0, s4
	s_wait_alu 0xf1ff
	v_add_co_ci_u32_e64 v3, s2, s5, v1, s2
	global_load_b32 v19, v[0:1], off
	v_add_co_u32 v0, s2, v2, s4
	s_wait_alu 0xf1ff
	v_add_co_ci_u32_e64 v1, s2, s5, v3, s2
	s_clause 0x1
	global_load_b32 v20, v[2:3], off
	global_load_b32 v21, v[0:1], off
	v_add_co_u32 v0, s2, v0, s4
	s_wait_alu 0xf1ff
	v_add_co_ci_u32_e64 v1, s2, s5, v1, s2
	s_delay_alu instid0(VALU_DEP_2) | instskip(SKIP_1) | instid1(VALU_DEP_2)
	v_add_co_u32 v2, s2, v0, s4
	s_wait_alu 0xf1ff
	v_add_co_ci_u32_e64 v3, s2, s5, v1, s2
	global_load_b32 v22, v[0:1], off
	v_add_co_u32 v0, s2, v2, s4
	s_wait_alu 0xf1ff
	v_add_co_ci_u32_e64 v1, s2, s5, v3, s2
	global_load_b32 v23, v[2:3], off
	;; [unrolled: 4-line block ×4, first 2 shown]
	v_add_co_u32 v2, s2, v0, s4
	s_wait_alu 0xf1ff
	v_add_co_ci_u32_e64 v3, s2, s5, v1, s2
	s_delay_alu instid0(VALU_DEP_2) | instskip(SKIP_1) | instid1(VALU_DEP_2)
	v_add_co_u32 v4, s2, v2, s4
	s_wait_alu 0xf1ff
	v_add_co_ci_u32_e64 v5, s2, s5, v3, s2
	global_load_b32 v0, v[0:1], off
	global_load_b32 v1, v[2:3], off
	;; [unrolled: 1-line block ×3, first 2 shown]
	s_wait_loadcnt 0x15
	v_lshrrev_b32_e32 v3, 16, v6
	s_wait_loadcnt 0x14
	v_lshrrev_b32_e32 v4, 16, v7
	;; [unrolled: 2-line block ×9, first 2 shown]
	v_mul_f16_e32 v36, v3, v14
	s_wait_loadcnt 0xc
	v_lshrrev_b32_e32 v34, 16, v15
	s_wait_loadcnt 0xb
	v_lshrrev_b32_e32 v35, 16, v16
	v_mul_f16_e32 v3, v3, v30
	v_fma_f16 v30, v6, v30, -v36
	s_wait_loadcnt 0xa
	v_lshrrev_b32_e32 v38, 16, v18
	s_wait_loadcnt 0x9
	v_lshrrev_b32_e32 v37, 16, v19
	v_mul_f16_e32 v39, v4, v19
	v_fmac_f16_e32 v3, v6, v14
	s_delay_alu instid0(VALU_DEP_3)
	v_mul_f16_e32 v4, v4, v37
	s_wait_loadcnt 0x8
	v_lshrrev_b32_e32 v6, 16, v20
	v_fma_f16 v14, v7, v37, -v39
	v_mul_f16_e32 v36, v5, v20
	v_pack_b32_f16 v3, v3, v30
	v_fmac_f16_e32 v4, v7, v19
	v_mul_f16_e32 v5, v5, v6
	s_wait_loadcnt 0x7
	v_lshrrev_b32_e32 v7, 16, v21
	v_mul_f16_e32 v19, v26, v21
	v_fma_f16 v6, v8, v6, -v36
	v_pack_b32_f16 v4, v4, v14
	v_fmac_f16_e32 v5, v8, v20
	s_wait_loadcnt 0x6
	v_lshrrev_b32_e32 v14, 16, v22
	v_mul_f16_e32 v8, v26, v7
	v_fma_f16 v7, v9, v7, -v19
	v_mul_f16_e32 v19, v27, v22
	ds_store_2addr_b32 v32, v3, v4 offset1:36
	v_mul_f16_e32 v4, v27, v14
	v_pack_b32_f16 v3, v5, v6
	v_fmac_f16_e32 v8, v9, v21
	s_wait_loadcnt 0x5
	v_lshrrev_b32_e32 v5, 16, v23
	v_fma_f16 v6, v10, v14, -v19
	v_mul_f16_e32 v9, v28, v23
	v_fmac_f16_e32 v4, v10, v22
	s_wait_loadcnt 0x4
	v_lshrrev_b32_e32 v10, 16, v24
	v_pack_b32_f16 v7, v8, v7
	v_mul_f16_e32 v8, v28, v5
	v_fma_f16 v5, v11, v5, -v9
	v_mul_f16_e32 v9, v29, v24
	v_pack_b32_f16 v4, v4, v6
	v_mul_f16_e32 v6, v29, v10
	v_fmac_f16_e32 v8, v11, v23
	s_wait_loadcnt 0x3
	v_lshrrev_b32_e32 v11, 16, v25
	v_mul_f16_e32 v14, v31, v25
	v_fma_f16 v9, v12, v10, -v9
	v_fmac_f16_e32 v6, v12, v24
	v_pack_b32_f16 v5, v8, v5
	v_mul_f16_e32 v8, v31, v11
	v_fma_f16 v10, v13, v11, -v14
	s_wait_loadcnt 0x2
	v_lshrrev_b32_e32 v11, 16, v0
	v_mul_f16_e32 v12, v34, v0
	v_pack_b32_f16 v6, v6, v9
	s_wait_loadcnt 0x1
	v_lshrrev_b32_e32 v9, 16, v1
	v_fmac_f16_e32 v8, v13, v25
	s_wait_loadcnt 0x0
	v_lshrrev_b32_e32 v13, 16, v2
	v_mul_f16_e32 v14, v34, v11
	v_fma_f16 v11, v15, v11, -v12
	v_mul_f16_e32 v12, v35, v1
	v_mul_f16_e32 v19, v35, v9
	;; [unrolled: 1-line block ×4, first 2 shown]
	v_fmac_f16_e32 v14, v15, v0
	v_fma_f16 v0, v16, v9, -v12
	v_fmac_f16_e32 v19, v16, v1
	v_fmac_f16_e32 v20, v18, v2
	v_fma_f16 v1, v18, v13, -v21
	v_pack_b32_f16 v2, v8, v10
	v_pack_b32_f16 v8, v14, v11
	;; [unrolled: 1-line block ×3, first 2 shown]
	v_add_nc_u32_e32 v9, 0x400, v32
	v_pack_b32_f16 v1, v20, v1
	ds_store_2addr_b32 v32, v3, v7 offset0:72 offset1:108
	ds_store_2addr_b32 v32, v4, v5 offset0:144 offset1:180
	;; [unrolled: 1-line block ×4, first 2 shown]
	ds_store_b32 v32, v1 offset:1440
.LBB0_3:
	s_or_b32 exec_lo, exec_lo, s3
	s_clause 0x1
	s_load_b64 s[4:5], s[0:1], 0x20
	s_load_b64 s[2:3], s[0:1], 0x8
	v_mov_b32_e32 v0, 0
	global_wb scope:SCOPE_SE
	s_wait_dscnt 0x0
	s_wait_kmcnt 0x0
	s_barrier_signal -1
	s_barrier_wait -1
	global_inv scope:SCOPE_SE
                                        ; implicit-def: $vgpr10
                                        ; implicit-def: $vgpr3
                                        ; implicit-def: $vgpr5
                                        ; implicit-def: $vgpr7
                                        ; implicit-def: $vgpr9
	s_and_saveexec_b32 s0, vcc_lo
	s_cbranch_execz .LBB0_5
; %bb.4:
	v_add_nc_u32_e32 v2, 0x400, v32
	ds_load_2addr_b32 v[0:1], v32 offset1:36
	ds_load_2addr_b32 v[8:9], v32 offset0:72 offset1:108
	ds_load_2addr_b32 v[6:7], v32 offset0:144 offset1:180
	;; [unrolled: 1-line block ×4, first 2 shown]
	ds_load_b32 v10, v32 offset:1440
.LBB0_5:
	s_wait_alu 0xfffe
	s_or_b32 exec_lo, exec_lo, s0
	s_wait_dscnt 0x0
	v_pk_add_f16 v11, v1, v10 neg_lo:[0,1] neg_hi:[0,1]
	v_pk_add_f16 v14, v10, v1
	v_pk_add_f16 v12, v8, v3 neg_lo:[0,1] neg_hi:[0,1]
	v_pk_add_f16 v13, v9, v2 neg_lo:[0,1] neg_hi:[0,1]
	v_pk_add_f16 v15, v3, v8
	v_lshrrev_b32_e32 v50, 16, v11
	v_pk_mul_f16 v16, 0x3abb36a6, v14
	v_lshrrev_b32_e32 v51, 16, v12
	v_lshrrev_b32_e32 v55, 16, v14
	v_mul_f16_e32 v42, 0xbb47, v11
	v_mul_f16_e32 v28, 0xb853, v50
	v_lshrrev_b32_e32 v52, 16, v13
	v_mul_f16_e32 v27, 0xbb47, v51
	v_pk_fma_f16 v25, 0xbb47b853, v11, v16 op_sel:[0,0,1] op_sel_hi:[1,1,0] neg_lo:[0,1,0] neg_hi:[0,1,0]
	v_pk_fma_f16 v26, 0xbb47b853, v11, v16 op_sel:[0,0,1] op_sel_hi:[1,1,0]
	v_fmamk_f16 v20, v14, 0x3abb, v28
	v_pk_add_f16 v16, v6, v5 neg_lo:[0,1] neg_hi:[0,1]
	v_lshrrev_b32_e32 v29, 16, v0
	v_pk_add_f16 v18, v2, v9
	v_fma_f16 v21, v55, 0x36a6, -v42
	v_fmamk_f16 v22, v15, 0x36a6, v27
	v_add_f16_e32 v20, v20, v0
	v_mul_f16_e32 v36, 0xbbeb, v52
	v_lshrrev_b32_e32 v53, 16, v16
	v_pk_mul_f16 v19, 0x36a6b93d, v15
	v_lshrrev_b32_e32 v54, 16, v15
	v_mul_f16_e32 v41, 0xba0c, v12
	v_add_f16_e32 v23, v21, v29
	v_add_f16_e32 v20, v22, v20
	v_fmamk_f16 v22, v18, 0xb08e, v36
	v_pk_add_f16 v21, v5, v6
	v_mul_f16_e32 v37, 0xba0c, v53
	v_pk_fma_f16 v30, 0xba0cbb47, v12, v19 op_sel:[0,0,1] op_sel_hi:[1,1,0] neg_lo:[0,1,0] neg_hi:[0,1,0]
	v_pk_fma_f16 v35, 0xba0cbb47, v12, v19 op_sel:[0,0,1] op_sel_hi:[1,1,0]
	v_fma_f16 v19, v54, 0xb93d, -v41
	v_lshrrev_b32_e32 v57, 16, v18
	v_mul_f16_e32 v47, 0x3482, v13
	v_pk_mul_f16 v24, 0xb08ebbad, v18
	v_add_f16_e32 v20, v22, v20
	v_fmamk_f16 v22, v21, 0xb93d, v37
	v_add_f16_e32 v19, v19, v23
	v_fma_f16 v23, v57, 0xbbad, -v47
	v_pk_fma_f16 v38, 0x3482bbeb, v13, v24 op_sel:[0,0,1] op_sel_hi:[1,1,0] neg_lo:[0,1,0] neg_hi:[0,1,0]
	v_pk_fma_f16 v39, 0x3482bbeb, v13, v24 op_sel:[0,0,1] op_sel_hi:[1,1,0]
	v_pk_mul_f16 v24, 0xb93db08e, v21
	v_add_f16_e32 v20, v22, v20
	v_lshrrev_b32_e32 v58, 16, v21
	v_mul_f16_e32 v43, 0x3beb, v16
	v_lshrrev_b32_e32 v22, 16, v26
	v_add_f16_e32 v19, v23, v19
	v_pk_add_f16 v23, v7, v4 neg_lo:[0,1] neg_hi:[0,1]
	v_pk_fma_f16 v40, 0x3bebba0c, v16, v24 op_sel:[0,0,1] op_sel_hi:[1,1,0] neg_lo:[0,1,0] neg_hi:[0,1,0]
	v_pk_fma_f16 v45, 0x3bebba0c, v16, v24 op_sel:[0,0,1] op_sel_hi:[1,1,0]
	v_fma_f16 v31, v58, 0xb08e, -v43
	v_add_f16_e32 v34, v25, v29
	v_add_f16_e32 v22, v22, v0
	v_lshrrev_b32_e32 v46, 16, v35
	v_pk_add_f16 v24, v4, v7
	v_lshrrev_b32_e32 v56, 16, v23
	v_add_f16_e32 v31, v31, v19
	v_add_f16_e32 v19, v30, v34
	;; [unrolled: 1-line block ×3, first 2 shown]
	v_lshrrev_b32_e32 v34, 16, v39
	v_pk_mul_f16 v48, 0xbbad3abb, v24
	v_mul_f16_e32 v44, 0xb482, v56
	v_add_f16_e32 v19, v38, v19
	v_lshrrev_b32_e32 v59, 16, v24
	v_add_f16_e32 v22, v34, v22
	v_lshrrev_b32_e32 v34, 16, v45
	v_pk_fma_f16 v46, 0x3853b482, v23, v48 op_sel:[0,0,1] op_sel_hi:[1,1,0]
	v_mul_f16_e32 v49, 0x3853, v23
	v_fmamk_f16 v60, v24, 0xbbad, v44
	v_pk_fma_f16 v48, 0x3853b482, v23, v48 op_sel:[0,0,1] op_sel_hi:[1,1,0] neg_lo:[0,1,0] neg_hi:[0,1,0]
	v_add_f16_e32 v19, v40, v19
	v_add_f16_e32 v34, v34, v22
	v_lshrrev_b32_e32 v61, 16, v46
	v_fma_f16 v62, v59, 0x3abb, -v49
	v_add_f16_e32 v20, v60, v20
	v_add_f16_e32 v22, v48, v19
	global_wb scope:SCOPE_SE
	v_add_f16_e32 v19, v61, v34
	v_add_f16_e32 v31, v62, v31
	v_mul_lo_u16 v34, v33, 11
	s_barrier_signal -1
	s_barrier_wait -1
	global_inv scope:SCOPE_SE
	s_and_saveexec_b32 s0, vcc_lo
	s_cbranch_execz .LBB0_7
; %bb.6:
	v_mul_f16_e32 v60, 0xb08e, v55
	v_mul_f16_e32 v64, 0xbbad, v54
	;; [unrolled: 1-line block ×5, first 2 shown]
	v_fmamk_f16 v65, v11, 0x3beb, v60
	v_fmamk_f16 v69, v12, 0xb482, v64
	;; [unrolled: 1-line block ×4, first 2 shown]
	v_mul_f16_e32 v55, 0xb93d, v55
	v_add_f16_e32 v65, v65, v29
	v_mul_f16_e32 v67, 0xb93d, v54
	v_mul_f16_e32 v54, 0xb08e, v54
	;; [unrolled: 1-line block ×3, first 2 shown]
	v_fmamk_f16 v83, v11, 0x3a0c, v55
	v_add_f16_e32 v65, v69, v65
	v_mul_f16_e32 v57, 0x3abb, v57
	v_fmamk_f16 v85, v12, 0xbbeb, v54
	v_mul_f16_e32 v74, 0xb08e, v58
	v_add_f16_e32 v83, v83, v29
	v_add_f16_e32 v65, v73, v65
	v_mul_f16_e32 v75, 0xbbeb, v50
	v_mul_f16_e32 v58, 0xbbad, v58
	;; [unrolled: 1-line block ×4, first 2 shown]
	v_add_f16_e32 v65, v76, v65
	v_mul_f16_e32 v76, 0xb93d, v59
	v_mul_f16_e32 v51, 0x3beb, v51
	;; [unrolled: 1-line block ×5, first 2 shown]
	v_fmamk_f16 v82, v23, 0x3a0c, v76
	v_fmac_f16_e32 v55, 0xba0c, v11
	v_mul_f16_e32 v53, 0xb482, v53
	v_fmac_f16_e32 v60, 0xbbeb, v11
	v_add_f16_e32 v42, v42, v63
	v_add_f16_e32 v65, v82, v65
	;; [unrolled: 1-line block ×3, first 2 shown]
	v_fmamk_f16 v83, v13, 0x3853, v57
	v_fmamk_f16 v85, v14, 0xb93d, v50
	v_fma_f16 v50, v14, 0xb93d, -v50
	v_fmamk_f16 v78, v14, 0xb08e, v75
	v_add_f16_e32 v55, v55, v29
	v_add_f16_e32 v82, v83, v82
	v_fmamk_f16 v83, v16, 0x3482, v58
	v_add_f16_e32 v50, v50, v0
	v_add_f16_e32 v41, v41, v67
	v_pk_add_f16 v1, v1, v0
	v_add_f16_e32 v78, v78, v0
	v_add_f16_e32 v82, v83, v82
	;; [unrolled: 1-line block ×3, first 2 shown]
	v_fmamk_f16 v85, v15, 0xb08e, v51
	v_fma_f16 v51, v15, 0xb08e, -v51
	v_fmamk_f16 v80, v15, 0xbbad, v79
	v_pk_add_f16 v1, v8, v1
	v_mul_f16_e32 v77, 0x3abb, v59
	v_add_f16_e32 v83, v85, v83
	v_fmamk_f16 v85, v18, 0x3abb, v52
	v_add_f16_e32 v50, v51, v50
	v_fma_f16 v51, v18, 0x3abb, -v52
	v_add_f16_e32 v78, v80, v78
	v_fmamk_f16 v80, v18, 0x36a6, v81
	v_add_f16_e32 v83, v85, v83
	v_fmamk_f16 v85, v21, 0xbbad, v53
	v_add_f16_e32 v50, v51, v50
	v_fma_f16 v51, v21, 0xbbad, -v53
	v_add_f16_e32 v53, v60, v29
	v_add_f16_e32 v29, v42, v29
	;; [unrolled: 1-line block ×3, first 2 shown]
	v_pk_add_f16 v1, v9, v1
	v_mul_f16_e32 v61, 0x3abb, v14
	v_add_f16_e32 v78, v80, v78
	v_add_f16_e32 v29, v41, v29
	;; [unrolled: 1-line block ×3, first 2 shown]
	v_fmamk_f16 v80, v21, 0x3abb, v84
	v_add_f16_e32 v9, v49, v77
	v_pk_add_f16 v1, v6, v1
	v_mul_f16_e32 v66, 0x36a6, v15
	v_add_f16_e32 v29, v41, v29
	v_add_f16_e32 v78, v80, v78
	v_mul_f16_e32 v80, 0xba0c, v56
	v_fmac_f16_e32 v54, 0x3beb, v12
	v_mul_f16_e32 v56, 0x3b47, v56
	v_add_f16_e32 v8, v8, v29
	v_sub_f16_e32 v28, v61, v28
	v_pk_add_f16 v1, v7, v1
	v_mul_f16_e32 v70, 0xb08e, v18
	v_add_f16_e32 v54, v54, v55
	v_add_f16_e32 v8, v9, v8
	v_bfi_b32 v9, 0xffff, v26, v25
	v_add_f16_e32 v55, v85, v83
	v_fmamk_f16 v83, v24, 0x36a6, v56
	v_add_f16_e32 v28, v28, v0
	v_sub_f16_e32 v27, v66, v27
	v_bfi_b32 v25, 0xffff, v35, v30
	v_pk_add_f16 v1, v4, v1
	v_pk_add_f16 v4, v9, v0 op_sel:[0,1] op_sel_hi:[1,0]
	v_add_f16_e32 v52, v83, v55
	v_fmac_f16_e32 v64, 0x3482, v12
	v_fma_f16 v55, v14, 0xb08e, -v75
	v_add_f16_e32 v27, v27, v28
	v_sub_f16_e32 v6, v70, v36
	v_bfi_b32 v26, 0xffff, v39, v38
	v_pk_add_f16 v1, v5, v1
	v_pk_add_f16 v4, v25, v4
	v_pk_mul_f16 v5, 0xbbad, v14 op_sel_hi:[0,1]
	s_wait_alu 0xfffe
	v_alignbit_b32 v62, s0, v0, 16
	v_add_f16_e32 v50, v51, v50
	v_fma_f16 v51, v24, 0x36a6, -v56
	v_add_f16_e32 v53, v64, v53
	v_fmac_f16_e32 v68, 0x3b47, v13
	v_add_f16_e32 v55, v55, v0
	v_fma_f16 v56, v15, 0xbbad, -v79
	v_add_f16_e32 v6, v6, v27
	v_bfi_b32 v27, 0xffff, v45, v40
	v_pk_add_f16 v1, v2, v1
	v_pk_add_f16 v2, v26, v4
	v_pk_fma_f16 v4, 0xb482, v11, v5 op_sel:[0,0,1] op_sel_hi:[0,1,0] neg_lo:[0,1,0] neg_hi:[0,1,0]
	v_pk_mul_f16 v14, 0x3abb, v15 op_sel_hi:[0,1]
	v_add_f16_e32 v50, v51, v50
	v_add_f16_e32 v51, v68, v53
	v_add_f16_e32 v53, v56, v55
	v_fma_f16 v55, v18, 0x36a6, -v81
	v_bfi_b32 v9, 0xffff, v46, v48
	v_pk_add_f16 v1, v3, v1
	v_pk_add_f16 v2, v27, v2
	;; [unrolled: 1-line block ×3, first 2 shown]
	v_pk_fma_f16 v15, 0x3853, v12, v14 op_sel:[0,0,1] op_sel_hi:[0,1,0] neg_lo:[0,1,0] neg_hi:[0,1,0]
	v_pk_mul_f16 v18, 0xb93d, v18 op_sel_hi:[0,1]
	v_pk_fma_f16 v5, 0xb482, v11, v5 op_sel:[0,0,1] op_sel_hi:[0,1,0]
	v_alignbit_b32 v4, s0, v4, 16
	v_pk_add_f16 v2, v9, v2
	v_pk_add_f16 v3, v15, v3
	v_pk_fma_f16 v9, 0xba0c, v13, v18 op_sel:[0,0,1] op_sel_hi:[0,1,0] neg_lo:[0,1,0] neg_hi:[0,1,0]
	v_pk_add_f16 v5, v5, v0 op_sel:[0,1] op_sel_hi:[1,0]
	v_pk_fma_f16 v11, 0x3853, v12, v14 op_sel:[0,0,1] op_sel_hi:[0,1,0]
	v_pk_add_f16 v0, v4, v0
	v_alignbit_b32 v4, s0, v15, 16
	v_pk_mul_f16 v12, 0x36a6, v21 op_sel_hi:[0,1]
	v_mul_f16_e32 v69, 0xb93d, v21
	v_fmac_f16_e32 v57, 0xb853, v13
	v_fmac_f16_e32 v72, 0xb853, v16
	v_pk_add_f16 v3, v9, v3
	v_pk_add_f16 v5, v11, v5
	v_pk_fma_f16 v11, 0xba0c, v13, v18 op_sel:[0,0,1] op_sel_hi:[0,1,0]
	v_pk_add_f16 v0, v4, v0
	v_alignbit_b32 v4, s0, v9, 16
	v_pk_fma_f16 v9, 0x3b47, v16, v12 op_sel:[0,0,1] op_sel_hi:[0,1,0] neg_lo:[0,1,0] neg_hi:[0,1,0]
	v_pk_mul_f16 v13, 0xb08e, v24 op_sel_hi:[0,1]
	v_mul_f16_e32 v73, 0xbbad, v24
	v_sub_f16_e32 v7, v69, v37
	v_mul_f16_e32 v59, 0x36a6, v59
	v_add_f16_e32 v54, v57, v54
	v_fmac_f16_e32 v58, 0xb482, v16
	v_add_f16_e32 v42, v72, v51
	v_add_f16_e32 v51, v55, v53
	v_fma_f16 v53, v21, 0x3abb, -v84
	v_pk_add_f16 v5, v11, v5
	v_pk_fma_f16 v11, 0x3b47, v16, v12 op_sel:[0,0,1] op_sel_hi:[0,1,0]
	v_pk_add_f16 v0, v4, v0
	v_alignbit_b32 v4, s0, v9, 16
	v_pk_fma_f16 v12, 0xbbeb, v23, v13 op_sel:[0,0,1] op_sel_hi:[0,1,0] neg_lo:[0,1,0] neg_hi:[0,1,0]
	v_add_f16_e32 v6, v7, v6
	v_sub_f16_e32 v7, v73, v44
	v_fmamk_f16 v87, v23, 0xbb47, v59
	v_add_f16_e32 v54, v58, v54
	v_fmac_f16_e32 v59, 0x3b47, v23
	v_fmac_f16_e32 v76, 0xba0c, v23
	v_add_f16_e32 v47, v53, v51
	v_fma_f16 v41, v24, 0xb93d, -v80
	v_pk_add_f16 v3, v9, v3
	v_pk_add_f16 v5, v11, v5
	v_pk_fma_f16 v9, 0xbbeb, v23, v13 op_sel:[0,0,1] op_sel_hi:[0,1,0]
	v_pk_add_f16 v0, v4, v0
	v_alignbit_b32 v4, s0, v12, 16
	v_fmamk_f16 v86, v24, 0xb93d, v80
	v_add_f16_e32 v6, v7, v6
	v_and_b32_e32 v7, 0xffff, v34
	v_add_f16_e32 v54, v59, v54
	v_add_f16_e32 v42, v76, v42
	;; [unrolled: 1-line block ×3, first 2 shown]
	v_pk_add_f16 v3, v12, v3
	v_pk_add_f16 v5, v9, v5
	;; [unrolled: 1-line block ×3, first 2 shown]
	v_add_f16_e32 v78, v86, v78
	v_add_f16_e32 v82, v87, v82
	v_lshlrev_b32_e32 v7, 2, v7
	v_pk_add_f16 v1, v10, v1
	v_alignbit_b32 v8, v8, v2, 16
	v_pack_b32_f16 v2, v6, v2
	v_pack_b32_f16 v4, v50, v54
	;; [unrolled: 1-line block ×3, first 2 shown]
	v_alignbit_b32 v3, v3, v5, 16
	v_pack_b32_f16 v0, v0, v5
	v_pack_b32_f16 v5, v78, v65
	;; [unrolled: 1-line block ×3, first 2 shown]
	v_perm_b32 v10, v22, v20, 0x5040100
	v_perm_b32 v11, v31, v19, 0x5040100
	ds_store_b32 v7, v1
	ds_store_2addr_b32 v7, v2, v8 offset0:1 offset1:2
	ds_store_2addr_b32 v7, v6, v4 offset0:3 offset1:4
	;; [unrolled: 1-line block ×5, first 2 shown]
.LBB0_7:
	s_wait_alu 0xfffe
	s_or_b32 exec_lo, exec_lo, s0
	v_and_b32_e32 v0, 0xff, v33
	s_load_b128 s[4:7], s[4:5], 0x0
	global_wb scope:SCOPE_SE
	s_wait_dscnt 0x0
	s_wait_kmcnt 0x0
	s_barrier_signal -1
	s_barrier_wait -1
	v_mul_lo_u16 v0, 0x75, v0
	global_inv scope:SCOPE_SE
	v_add_nc_u32_e32 v54, 0x400, v32
	v_cmp_gt_u16_e64 s0, 11, v33
	v_lshrrev_b16 v0, 8, v0
	s_delay_alu instid0(VALU_DEP_1) | instskip(NEXT) | instid1(VALU_DEP_1)
	v_sub_nc_u16 v1, v33, v0
	v_lshrrev_b16 v1, 1, v1
	s_delay_alu instid0(VALU_DEP_1) | instskip(NEXT) | instid1(VALU_DEP_1)
	v_and_b32_e32 v1, 0x7f, v1
	v_add_nc_u16 v0, v1, v0
	s_delay_alu instid0(VALU_DEP_1) | instskip(NEXT) | instid1(VALU_DEP_1)
	v_lshrrev_b16 v16, 3, v0
	v_mul_lo_u16 v0, v16, 11
	v_and_b32_e32 v16, 0xffff, v16
	s_delay_alu instid0(VALU_DEP_2) | instskip(NEXT) | instid1(VALU_DEP_2)
	v_sub_nc_u16 v0, v33, v0
	v_mul_u32_u24_e32 v16, 0x63, v16
	s_delay_alu instid0(VALU_DEP_2) | instskip(NEXT) | instid1(VALU_DEP_1)
	v_and_b32_e32 v18, 0xff, v0
	v_lshlrev_b32_e32 v4, 5, v18
	s_delay_alu instid0(VALU_DEP_3)
	v_add_lshl_u32 v35, v16, v18, 2
	s_clause 0x1
	global_load_b128 v[0:3], v4, s[2:3]
	global_load_b128 v[4:7], v4, s[2:3] offset:16
	ds_load_2addr_b32 v[8:9], v32 offset1:44
	ds_load_2addr_b32 v[10:11], v32 offset0:88 offset1:132
	ds_load_2addr_b32 v[12:13], v32 offset0:176 offset1:220
	ds_load_b32 v21, v32 offset:1408
	ds_load_2addr_b32 v[14:15], v54 offset0:8 offset1:52
	global_wb scope:SCOPE_SE
	s_wait_loadcnt_dscnt 0x0
	s_barrier_signal -1
	s_barrier_wait -1
	global_inv scope:SCOPE_SE
	v_lshrrev_b32_e32 v27, 16, v12
	v_lshrrev_b32_e32 v24, 16, v9
	;; [unrolled: 1-line block ×17, first 2 shown]
	v_mul_f16_e32 v16, v24, v53
	v_mul_f16_e32 v18, v9, v53
	;; [unrolled: 1-line block ×16, first 2 shown]
	v_fma_f16 v9, v9, v0, -v16
	v_fmac_f16_e32 v18, v24, v0
	v_fma_f16 v10, v10, v1, -v37
	v_fmac_f16_e32 v38, v25, v1
	v_fma_f16 v12, v12, v3, -v41
	v_fma_f16 v13, v13, v4, -v43
	;; [unrolled: 1-line block ×3, first 2 shown]
	v_fmac_f16_e32 v59, v29, v7
	v_fma_f16 v15, v15, v6, -v56
	v_fmac_f16_e32 v57, v36, v6
	v_fma_f16 v11, v11, v2, -v39
	v_fmac_f16_e32 v40, v26, v2
	v_fmac_f16_e32 v42, v27, v3
	;; [unrolled: 1-line block ×3, first 2 shown]
	v_fma_f16 v14, v14, v5, -v50
	v_fmac_f16_e32 v55, v30, v5
	v_add_f16_e32 v21, v9, v16
	v_add_f16_e32 v24, v18, v59
	;; [unrolled: 1-line block ×4, first 2 shown]
	v_sub_f16_e32 v9, v9, v16
	v_sub_f16_e32 v16, v18, v59
	;; [unrolled: 1-line block ×3, first 2 shown]
	v_add_f16_e32 v27, v11, v14
	v_add_f16_e32 v28, v40, v55
	v_sub_f16_e32 v10, v10, v15
	v_add_f16_e32 v30, v12, v13
	v_add_f16_e32 v36, v42, v44
	v_mul_f16_e32 v37, 0x3924, v9
	v_mul_f16_e32 v41, 0xb924, v18
	v_add_f16_e32 v60, v25, v21
	v_add_f16_e32 v61, v26, v24
	v_mul_f16_e32 v62, 0x3be1, v18
	v_sub_f16_e32 v11, v11, v14
	v_fmac_f16_e32 v37, 0x3be1, v10
	v_fmac_f16_e32 v41, 0x3be1, v9
	v_add_f16_e32 v64, v30, v60
	v_add_f16_e32 v65, v36, v61
	v_fma_f16 v62, v10, 0xb924, -v62
	v_add_f16_e32 v60, v27, v60
	v_add_f16_e32 v61, v28, v61
	;; [unrolled: 1-line block ×3, first 2 shown]
	v_fmac_f16_e32 v37, 0x3aee, v11
	v_fmac_f16_e32 v41, 0xbaee, v11
	;; [unrolled: 1-line block ×3, first 2 shown]
	v_add_f16_e32 v11, v12, v60
	v_add_f16_e32 v12, v42, v61
	v_sub_f16_e32 v29, v42, v44
	v_sub_f16_e32 v56, v56, v10
	v_fmac_f16_e32 v41, 0x3579, v10
	v_add_f16_e32 v10, v13, v11
	v_add_f16_e32 v11, v44, v12
	v_sub_f16_e32 v14, v40, v55
	v_mul_f16_e32 v43, 0xb924, v29
	v_fmamk_f16 v50, v30, 0x3a21, v8
	v_fmamk_f16 v55, v36, 0x3a21, v23
	v_sub_f16_e32 v15, v38, v57
	v_mul_f16_e32 v38, 0x3924, v16
	v_fmamk_f16 v39, v21, 0x3a21, v8
	v_fmamk_f16 v40, v24, 0x3a21, v23
	v_add_f16_e32 v58, v27, v8
	v_add_f16_e32 v59, v28, v23
	v_mul_f16_e32 v63, 0x3be1, v29
	v_fmac_f16_e32 v62, 0x3579, v9
	v_add_f16_e32 v9, v10, v8
	v_add_f16_e32 v10, v11, v23
	v_fmac_f16_e32 v8, 0x3a21, v25
	v_fmac_f16_e32 v23, 0x3a21, v26
	;; [unrolled: 1-line block ×8, first 2 shown]
	v_fma_f16 v63, v15, 0xb924, -v63
	v_fmac_f16_e32 v8, 0x318f, v30
	v_fmac_f16_e32 v23, 0x318f, v36
	v_add_f16_e32 v57, v29, v16
	v_fmac_f16_e32 v43, 0xbaee, v14
	v_fmac_f16_e32 v50, -0.5, v27
	v_fmac_f16_e32 v55, -0.5, v28
	v_fmac_f16_e32 v38, 0x3aee, v14
	v_fmac_f16_e32 v39, -0.5, v27
	v_fmac_f16_e32 v40, -0.5, v28
	;; [unrolled: 3-line block ×3, first 2 shown]
	v_sub_f16_e32 v57, v57, v15
	v_fmac_f16_e32 v58, -0.5, v64
	v_fmac_f16_e32 v59, -0.5, v65
	v_fmac_f16_e32 v43, 0x3579, v15
	v_fmac_f16_e32 v50, 0xbb84, v25
	;; [unrolled: 1-line block ×10, first 2 shown]
	v_mul_f16_e32 v66, 0x3aee, v56
	v_mul_f16_e32 v67, 0x3aee, v57
	v_fmac_f16_e32 v58, 0x3aee, v57
	v_fmac_f16_e32 v59, 0xbaee, v56
	v_add_f16_e32 v13, v43, v50
	v_sub_f16_e32 v14, v55, v41
	v_add_f16_e32 v11, v38, v39
	v_sub_f16_e32 v12, v40, v37
	;; [unrolled: 2-line block ×3, first 2 shown]
	v_fma_f16 v15, -2.0, v67, v58
	v_fma_f16 v16, 2.0, v66, v59
	v_fma_f16 v21, -2.0, v43, v13
	v_fma_f16 v24, 2.0, v41, v14
	;; [unrolled: 2-line block ×3, first 2 shown]
	v_pack_b32_f16 v9, v9, v10
	v_pack_b32_f16 v10, v11, v12
	;; [unrolled: 1-line block ×3, first 2 shown]
	v_fma_f16 v12, -2.0, v63, v8
	v_fma_f16 v13, 2.0, v62, v23
	v_pack_b32_f16 v25, v58, v59
	v_pack_b32_f16 v14, v15, v16
	;; [unrolled: 1-line block ×6, first 2 shown]
	ds_store_2addr_b32 v35, v9, v10 offset1:11
	ds_store_2addr_b32 v35, v11, v25 offset0:22 offset1:33
	ds_store_2addr_b32 v35, v14, v15 offset0:66 offset1:77
	ds_store_b32 v35, v16 offset:352
	ds_store_2addr_b32 v35, v8, v12 offset0:44 offset1:55
	global_wb scope:SCOPE_SE
	s_wait_dscnt 0x0
	s_barrier_signal -1
	s_barrier_wait -1
	global_inv scope:SCOPE_SE
	ds_load_2addr_b32 v[23:24], v32 offset1:44
	ds_load_2addr_b32 v[29:30], v32 offset0:99 offset1:143
	ds_load_2addr_b32 v[27:28], v32 offset0:198 offset1:242
	;; [unrolled: 1-line block ×3, first 2 shown]
                                        ; implicit-def: $vgpr55
	s_and_saveexec_b32 s1, s0
	s_cbranch_execz .LBB0_9
; %bb.8:
	ds_load_2addr_b32 v[18:19], v32 offset0:88 offset1:187
	ds_load_2addr_b32 v[20:21], v54 offset0:30 offset1:129
	s_wait_dscnt 0x1
	v_lshrrev_b32_e32 v50, 16, v18
	v_lshrrev_b32_e32 v31, 16, v19
	s_wait_dscnt 0x0
	v_lshrrev_b32_e32 v22, 16, v20
	v_lshrrev_b32_e32 v55, 16, v21
.LBB0_9:
	s_wait_alu 0xfffe
	s_or_b32 exec_lo, exec_lo, s1
	v_mad_co_u64_u32 v[8:9], null, v33, 12, s[2:3]
	s_wait_dscnt 0x2
	v_lshrrev_b32_e32 v36, 16, v29
	s_wait_dscnt 0x1
	v_lshrrev_b32_e32 v37, 16, v27
	;; [unrolled: 2-line block ×3, first 2 shown]
	v_lshrrev_b32_e32 v57, 16, v30
	v_lshrrev_b32_e32 v59, 16, v28
	;; [unrolled: 1-line block ×3, first 2 shown]
	s_clause 0x1
	global_load_b96 v[14:16], v[8:9], off offset:352
	global_load_b96 v[11:13], v[8:9], off offset:880
	v_add_nc_u32_e32 v8, 0x58, v33
	v_add_nc_u32_e32 v9, -11, v33
	v_lshrrev_b32_e32 v56, 16, v23
	v_lshrrev_b32_e32 v58, 16, v24
	s_delay_alu instid0(VALU_DEP_3) | instskip(NEXT) | instid1(VALU_DEP_1)
	v_cndmask_b32_e64 v8, v9, v8, s0
	v_mul_i32_i24_e32 v9, 12, v8
	v_mul_hi_i32_i24_e32 v10, 12, v8
	s_delay_alu instid0(VALU_DEP_2) | instskip(SKIP_1) | instid1(VALU_DEP_2)
	v_add_co_u32 v8, s1, s2, v9
	s_wait_alu 0xf1ff
	v_add_co_ci_u32_e64 v9, s1, s3, v10, s1
	global_load_b96 v[8:10], v[8:9], off offset:352
	s_wait_loadcnt 0x2
	v_lshrrev_b32_e32 v44, 16, v14
	v_lshrrev_b32_e32 v43, 16, v15
	;; [unrolled: 1-line block ×3, first 2 shown]
	s_wait_loadcnt 0x1
	v_lshrrev_b32_e32 v41, 16, v11
	v_lshrrev_b32_e32 v40, 16, v12
	;; [unrolled: 1-line block ×3, first 2 shown]
	v_mul_f16_e32 v61, v36, v44
	v_mul_f16_e32 v62, v29, v44
	;; [unrolled: 1-line block ×12, first 2 shown]
	v_fma_f16 v29, v29, v14, -v61
	v_fmac_f16_e32 v62, v36, v14
	v_fma_f16 v27, v27, v15, -v63
	v_fmac_f16_e32 v64, v37, v15
	;; [unrolled: 2-line block ×6, first 2 shown]
	s_wait_loadcnt 0x0
	v_lshrrev_b32_e32 v37, 16, v8
	v_lshrrev_b32_e32 v38, 16, v9
	v_lshrrev_b32_e32 v36, 16, v10
	v_sub_f16_e32 v60, v23, v27
	v_sub_f16_e32 v61, v56, v64
	;; [unrolled: 1-line block ×8, first 2 shown]
	v_mul_f16_e32 v64, v31, v37
	v_mul_f16_e32 v66, v19, v37
	;; [unrolled: 1-line block ×6, first 2 shown]
	v_fma_f16 v71, v23, 2.0, -v60
	v_fma_f16 v29, v29, 2.0, -v25
	;; [unrolled: 1-line block ×6, first 2 shown]
	v_fma_f16 v19, v19, v8, -v64
	v_fmac_f16_e32 v66, v31, v8
	v_fma_f16 v31, v20, v9, -v65
	v_fmac_f16_e32 v67, v22, v9
	;; [unrolled: 2-line block ×3, first 2 shown]
	v_fma_f16 v72, v56, 2.0, -v61
	v_fma_f16 v62, v62, 2.0, -v27
	v_sub_f16_e32 v23, v60, v27
	v_add_f16_e32 v57, v61, v25
	v_sub_f16_e32 v22, v71, v29
	v_sub_f16_e32 v20, v74, v30
	;; [unrolled: 1-line block ×7, first 2 shown]
	v_add_f16_e32 v56, v63, v26
	v_sub_f16_e32 v59, v72, v62
	v_fma_f16 v25, v60, 2.0, -v23
	v_fma_f16 v60, v61, 2.0, -v57
	v_sub_f16_e32 v26, v73, v24
	v_fma_f16 v24, v71, 2.0, -v22
	v_fma_f16 v18, v18, 2.0, -v30
	;; [unrolled: 1-line block ×10, first 2 shown]
	v_sub_f16_e32 v19, v30, v31
	v_add_f16_e32 v50, v64, v21
	v_sub_f16_e32 v61, v18, v61
	v_sub_f16_e32 v62, v71, v62
	v_pack_b32_f16 v21, v24, v63
	v_pack_b32_f16 v73, v28, v65
	v_fma_f16 v31, v30, 2.0, -v19
	v_fma_f16 v30, v18, 2.0, -v61
	;; [unrolled: 1-line block ×4, first 2 shown]
	v_pack_b32_f16 v67, v25, v60
	v_pack_b32_f16 v70, v29, v58
	;; [unrolled: 1-line block ×6, first 2 shown]
	ds_store_2addr_b32 v32, v21, v73 offset1:44
	ds_store_2addr_b32 v32, v67, v70 offset0:99 offset1:143
	ds_store_2addr_b32 v32, v69, v72 offset0:198 offset1:242
	;; [unrolled: 1-line block ×3, first 2 shown]
	s_and_saveexec_b32 s1, s0
	s_cbranch_execz .LBB0_11
; %bb.10:
	v_perm_b32 v18, v66, v30, 0x5040100
	v_perm_b32 v21, v64, v31, 0x5040100
	v_perm_b32 v54, v62, v61, 0x5040100
	v_perm_b32 v55, v50, v19, 0x5040100
	v_add_nc_u32_e32 v67, 0x400, v32
	ds_store_2addr_b32 v32, v18, v21 offset0:88 offset1:187
	ds_store_2addr_b32 v67, v54, v55 offset0:30 offset1:129
.LBB0_11:
	s_wait_alu 0xfffe
	s_or_b32 exec_lo, exec_lo, s1
	global_wb scope:SCOPE_SE
	s_wait_dscnt 0x0
	s_barrier_signal -1
	s_barrier_wait -1
	global_inv scope:SCOPE_SE
	s_and_saveexec_b32 s1, vcc_lo
	s_cbranch_execz .LBB0_13
; %bb.12:
	global_load_b32 v18, v32, s[12:13] offset:1584
	s_add_nc_u64 s[2:3], s[12:13], 0x630
	s_clause 0x9
	global_load_b32 v21, v32, s[2:3] offset:144
	global_load_b32 v75, v32, s[2:3] offset:288
	;; [unrolled: 1-line block ×10, first 2 shown]
	ds_load_b32 v54, v32
	v_add_nc_u32_e32 v84, 0x400, v32
	s_wait_dscnt 0x0
	v_lshrrev_b32_e32 v55, 16, v54
	s_wait_loadcnt 0x9
	v_lshrrev_b32_e32 v85, 16, v21
	s_wait_loadcnt 0x8
	;; [unrolled: 2-line block ×6, first 2 shown]
	v_lshrrev_b32_e32 v90, 16, v79
	v_lshrrev_b32_e32 v67, 16, v18
	s_wait_loadcnt 0x3
	v_lshrrev_b32_e32 v91, 16, v80
	s_wait_loadcnt 0x2
	;; [unrolled: 2-line block ×4, first 2 shown]
	v_lshrrev_b32_e32 v94, 16, v83
	v_mul_f16_e32 v68, v55, v67
	v_mul_f16_e32 v67, v54, v67
	s_delay_alu instid0(VALU_DEP_2) | instskip(NEXT) | instid1(VALU_DEP_2)
	v_fma_f16 v54, v54, v18, -v68
	v_fmac_f16_e32 v67, v55, v18
	s_delay_alu instid0(VALU_DEP_1)
	v_pack_b32_f16 v18, v54, v67
	ds_store_b32 v32, v18
	v_add_nc_u32_e32 v18, 0x200, v32
	ds_load_2addr_b32 v[54:55], v32 offset0:36 offset1:72
	ds_load_2addr_b32 v[67:68], v32 offset0:108 offset1:144
	;; [unrolled: 1-line block ×5, first 2 shown]
	s_wait_dscnt 0x4
	v_lshrrev_b32_e32 v95, 16, v54
	v_lshrrev_b32_e32 v97, 16, v55
	s_wait_dscnt 0x3
	v_lshrrev_b32_e32 v99, 16, v67
	v_lshrrev_b32_e32 v101, 16, v68
	;; [unrolled: 3-line block ×4, first 2 shown]
	v_lshrrev_b32_e32 v111, 16, v73
	v_lshrrev_b32_e32 v113, 16, v74
	v_mul_f16_e32 v96, v54, v85
	v_mul_f16_e32 v98, v55, v86
	;; [unrolled: 1-line block ×20, first 2 shown]
	v_fmac_f16_e32 v96, v95, v21
	v_fmac_f16_e32 v98, v97, v75
	v_fma_f16 v21, v54, v21, -v85
	v_fma_f16 v54, v55, v75, -v86
	v_fmac_f16_e32 v100, v99, v76
	v_fmac_f16_e32 v102, v101, v77
	v_fma_f16 v55, v67, v76, -v87
	v_fma_f16 v67, v68, v77, -v88
	;; [unrolled: 4-line block ×5, first 2 shown]
	v_pack_b32_f16 v21, v21, v96
	v_pack_b32_f16 v54, v54, v98
	;; [unrolled: 1-line block ×10, first 2 shown]
	ds_store_2addr_b32 v32, v21, v54 offset0:36 offset1:72
	ds_store_2addr_b32 v32, v55, v67 offset0:108 offset1:144
	;; [unrolled: 1-line block ×5, first 2 shown]
.LBB0_13:
	s_wait_alu 0xfffe
	s_or_b32 exec_lo, exec_lo, s1
	global_wb scope:SCOPE_SE
	s_wait_dscnt 0x0
	s_barrier_signal -1
	s_barrier_wait -1
	global_inv scope:SCOPE_SE
	s_and_saveexec_b32 s1, vcc_lo
	s_cbranch_execz .LBB0_15
; %bb.14:
	v_add_nc_u32_e32 v18, 0x400, v32
	ds_load_2addr_b32 v[24:25], v32 offset1:36
	ds_load_2addr_b32 v[22:23], v32 offset0:72 offset1:108
	ds_load_2addr_b32 v[28:29], v32 offset0:144 offset1:180
	;; [unrolled: 1-line block ×4, first 2 shown]
	ds_load_b32 v61, v32 offset:1440
	s_wait_dscnt 0x5
	v_lshrrev_b32_e32 v63, 16, v24
	v_lshrrev_b32_e32 v60, 16, v25
	s_wait_dscnt 0x4
	v_lshrrev_b32_e32 v59, 16, v22
	v_lshrrev_b32_e32 v57, 16, v23
	;; [unrolled: 3-line block ×5, first 2 shown]
	s_wait_dscnt 0x0
	v_lshrrev_b32_e32 v62, 16, v61
.LBB0_15:
	s_wait_alu 0xfffe
	s_or_b32 exec_lo, exec_lo, s1
	s_delay_alu instid0(VALU_DEP_1)
	v_sub_f16_e32 v97, v60, v62
	v_add_f16_e32 v85, v62, v60
	v_add_f16_e32 v80, v61, v25
	v_sub_f16_e32 v99, v25, v61
	v_add_f16_e32 v88, v64, v59
	v_mul_f16_e32 v67, 0xb853, v97
	v_sub_f16_e32 v98, v59, v64
	v_mul_f16_e32 v69, 0x3abb, v85
	v_add_f16_e32 v79, v31, v22
	v_mul_f16_e32 v75, 0xbb47, v97
	v_fma_f16 v18, v80, 0x3abb, -v67
	v_mul_f16_e32 v82, 0x36a6, v85
	v_mul_f16_e32 v68, 0xbb47, v98
	v_fmamk_f16 v21, v99, 0xb853, v69
	v_sub_f16_e32 v102, v22, v31
	v_mul_f16_e32 v70, 0x36a6, v88
	v_add_f16_e32 v93, v66, v57
	v_fma_f16 v54, v80, 0x36a6, -v75
	v_add_f16_e32 v18, v24, v18
	v_fmamk_f16 v55, v99, 0xbb47, v82
	v_fma_f16 v71, v79, 0x36a6, -v68
	v_add_f16_e32 v21, v63, v21
	v_fmamk_f16 v73, v102, 0xbb47, v70
	v_sub_f16_e32 v100, v57, v66
	v_mul_f16_e32 v83, 0xba0c, v98
	v_mul_f16_e32 v87, 0xb93d, v88
	v_sub_f16_e32 v104, v23, v30
	v_mul_f16_e32 v72, 0xb08e, v93
	v_add_f16_e32 v54, v24, v54
	v_add_f16_e32 v55, v63, v55
	;; [unrolled: 1-line block ×4, first 2 shown]
	v_mul_f16_e32 v71, 0xbbeb, v100
	v_fma_f16 v74, v79, 0xb93d, -v83
	v_fmamk_f16 v76, v102, 0xba0c, v87
	v_add_f16_e32 v21, v73, v21
	v_fmamk_f16 v73, v104, 0xbbeb, v72
	v_mul_f16_e32 v84, 0x3482, v100
	v_sub_f16_e32 v101, v65, v56
	v_add_f16_e32 v95, v56, v65
	v_fma_f16 v77, v86, 0xb08e, -v71
	v_add_f16_e32 v54, v74, v54
	v_add_f16_e32 v55, v76, v55
	v_add_f16_e32 v21, v73, v21
	v_mul_f16_e32 v90, 0xbbad, v93
	v_fma_f16 v76, v86, 0xbbad, -v84
	v_add_f16_e32 v91, v27, v28
	v_mul_f16_e32 v73, 0xba0c, v101
	v_sub_f16_e32 v106, v28, v27
	v_mul_f16_e32 v74, 0xb93d, v95
	v_mul_f16_e32 v81, 0x3beb, v101
	v_add_f16_e32 v18, v77, v18
	v_fmamk_f16 v77, v104, 0x3482, v90
	v_fma_f16 v78, v91, 0xb93d, -v73
	v_add_f16_e32 v54, v76, v54
	v_fmamk_f16 v76, v106, 0xba0c, v74
	v_fma_f16 v89, v91, 0xb08e, -v81
	v_mul_f16_e32 v92, 0xb08e, v95
	v_sub_f16_e32 v103, v58, v20
	v_add_f16_e32 v96, v20, v58
	v_add_f16_e32 v55, v77, v55
	;; [unrolled: 1-line block ×5, first 2 shown]
	v_fmamk_f16 v54, v106, 0x3beb, v92
	v_add_f16_e32 v94, v26, v29
	v_sub_f16_e32 v105, v29, v26
	v_mul_f16_e32 v76, 0xb482, v103
	v_mul_f16_e32 v77, 0xbbad, v96
	;; [unrolled: 1-line block ×4, first 2 shown]
	v_add_f16_e32 v55, v54, v55
	v_fma_f16 v54, v94, 0xbbad, -v76
	v_fmamk_f16 v108, v105, 0xb482, v77
	v_fma_f16 v109, v94, 0x3abb, -v78
	v_fmamk_f16 v110, v105, 0x3853, v89
	global_wb scope:SCOPE_SE
	v_add_f16_e32 v18, v54, v18
	v_add_f16_e32 v54, v108, v21
	;; [unrolled: 1-line block ×4, first 2 shown]
	s_barrier_signal -1
	s_barrier_wait -1
	global_inv scope:SCOPE_SE
	s_and_saveexec_b32 s1, vcc_lo
	s_cbranch_execz .LBB0_17
; %bb.16:
	v_mul_f16_e32 v112, 0xbbeb, v99
	v_mul_f16_e32 v118, 0x3482, v102
	;; [unrolled: 1-line block ×4, first 2 shown]
	v_mul_f16_e64 v131, 0xba0c, v105
	v_fmamk_f16 v117, v85, 0xb08e, v112
	v_fmamk_f16 v122, v88, 0xbbad, v118
	v_mul_f16_e64 v135, 0xba0c, v99
	v_mul_f16_e64 v138, 0x3beb, v102
	;; [unrolled: 1-line block ×3, first 2 shown]
	v_add_f16_e32 v117, v63, v117
	v_mul_f16_e64 v143, 0xb482, v106
	v_mul_f16_e64 v145, 0x3b47, v105
	v_fma_f16 v140, 0xb08e, v88, v138
	v_mul_f16_e32 v108, 0xb853, v99
	v_add_f16_e32 v117, v122, v117
	v_fmamk_f16 v122, v93, 0x36a6, v123
	v_mul_f16_e32 v110, 0xbb47, v99
	v_mul_f16_e32 v99, 0xb482, v99
	;; [unrolled: 1-line block ×4, first 2 shown]
	v_add_f16_e32 v117, v122, v117
	v_fmamk_f16 v122, v95, 0x3abb, v127
	v_mul_f16_e32 v102, 0x3853, v102
	v_mul_f16_e64 v130, 0xbbeb, v97
	v_mul_f16_e32 v119, 0xbbeb, v104
	v_mul_f16_e32 v121, 0x3482, v104
	v_add_f16_e32 v117, v122, v117
	v_fma_f16 v122, 0xb93d, v96, v131
	v_fma_f16 v150, 0x3abb, v88, v102
	v_mul_f16_e32 v104, 0xba0c, v104
	v_fma_f16 v133, v80, 0xb08e, -v130
	v_mul_f16_e64 v134, 0x3482, v98
	v_add_f16_e32 v117, v122, v117
	v_fma_f16 v122, 0xb93d, v85, v135
	v_mul_f16_e32 v125, 0xba0c, v106
	v_mul_f16_e64 v128, 0x3beb, v106
	v_mul_f16_e64 v144, 0xba0c, v97
	v_mul_f16_e32 v106, 0x3b47, v106
	v_add_f16_e32 v122, v63, v122
	v_mul_f16_e32 v97, 0xb482, v97
	v_add_f16_e64 v133, v24, v133
	v_fma_f16 v136, v79, 0xbbad, -v134
	v_mul_f16_e64 v137, 0x3b47, v100
	v_add_f16_e64 v122, v140, v122
	v_fma_f16 v140, 0x3abb, v93, v141
	v_mul_f16_e64 v146, 0x3beb, v98
	v_fma_f16 v153, v80, 0xbbad, -v97
	v_mul_f16_e32 v98, 0x3853, v98
	v_add_f16_e64 v133, v136, v133
	v_add_f16_e64 v122, v140, v122
	v_fma_f16 v140, 0xbbad, v95, v143
	v_fma_f16 v136, v86, 0x36a6, -v137
	v_mul_f16_e64 v139, 0xb853, v101
	v_fmac_f16_e32 v97, 0xbbad, v80
	v_mul_f16_e64 v148, 0xb853, v100
	v_add_f16_e64 v122, v140, v122
	v_fma_f16 v140, 0x36a6, v96, v145
	v_mul_f16_e32 v100, 0xba0c, v100
	v_add_f16_e64 v133, v136, v133
	v_fma_f16 v136, v91, 0x3abb, -v139
	v_mul_f16_e64 v142, 0xba0c, v103
	v_add_f16_e64 v122, v140, v122
	v_fma_f16 v140, 0xbbad, v85, v99
	v_fma_f16 v99, v85, 0xbbad, -v99
	v_add_f16_e32 v97, v24, v97
	v_mul_f16_e64 v149, 0xb482, v101
	v_fma_f16 v102, v88, 0x3abb, -v102
	v_add_f16_e64 v140, v63, v140
	v_add_f16_e32 v99, v63, v99
	v_mul_f16_e32 v101, 0x3b47, v101
	v_add_f16_e64 v133, v136, v133
	v_fma_f16 v136, v94, 0xb93d, -v142
	v_add_f16_e64 v140, v150, v140
	v_fma_f16 v150, 0xb93d, v93, v104
	v_mul_f16_e64 v151, 0x3b47, v103
	v_add_f16_e32 v99, v102, v99
	v_fma_f16 v102, v93, 0xb93d, -v104
	v_fma_f16 v104, v91, 0x36a6, -v101
	v_add_f16_e64 v140, v150, v140
	v_fma_f16 v150, 0x36a6, v95, v106
	v_mul_f16_e32 v103, 0xbbeb, v103
	v_add_f16_e64 v133, v136, v133
	v_fma_f16 v136, v80, 0xb93d, -v144
	v_fmac_f16_e32 v101, 0x36a6, v91
	v_add_f16_e64 v140, v150, v140
	v_add_f16_e64 v150, v24, v153
	v_fma_f16 v153, v79, 0x3abb, -v98
	v_fmac_f16_e32 v98, 0x3abb, v79
	v_fmac_f16_e64 v144, 0xb93d, v80
	v_add_f16_e32 v25, v25, v24
	v_add_f16_e32 v60, v60, v63
	v_add_f16_e64 v150, v153, v150
	v_fma_f16 v153, v86, 0xb93d, -v100
	v_add_f16_e32 v97, v98, v97
	v_fmac_f16_e32 v100, 0xb93d, v86
	v_add_f16_e32 v99, v102, v99
	v_fma_f16 v102, v95, 0x36a6, -v106
	v_add_f16_e64 v150, v153, v150
	v_fma_f16 v106, v94, 0xb08e, -v103
	v_add_f16_e32 v97, v100, v97
	v_add_f16_e64 v136, v24, v136
	v_fma_f16 v147, v79, 0xb08e, -v146
	v_add_f16_e64 v104, v104, v150
	v_mul_f16_e64 v152, 0xbbeb, v105
	v_add_f16_e32 v97, v101, v97
	v_add_f16_e64 v101, v24, v144
	v_fmac_f16_e64 v146, 0xb08e, v79
	v_add_f16_e32 v22, v22, v25
	v_add_f16_e32 v25, v59, v60
	;; [unrolled: 1-line block ×4, first 2 shown]
	v_fma_f16 v104, v85, 0xb93d, -v135
	v_fma_f16 v85, v85, 0xb08e, -v112
	v_add_f16_e64 v136, v147, v136
	v_fma_f16 v147, v86, 0x3abb, -v148
	v_fma_f16 v99, v96, 0xb08e, -v152
	v_add_f16_e64 v101, v146, v101
	v_fmac_f16_e64 v148, 0x3abb, v86
	v_add_f16_e32 v22, v23, v22
	v_add_f16_e32 v23, v57, v25
	v_fma_f16 v100, v88, 0xb08e, -v138
	v_add_f16_e32 v85, v63, v85
	v_fma_f16 v88, v88, 0xbbad, -v118
	v_mul_f16_e32 v107, 0x3abb, v80
	v_mul_f16_e32 v109, 0x36a6, v80
	v_add_f16_e64 v136, v147, v136
	v_fma_f16 v147, v91, 0xbbad, -v149
	v_add_f16_e32 v98, v99, v98
	v_add_f16_e32 v99, v63, v104
	v_add_f16_e64 v101, v148, v101
	v_fmac_f16_e64 v149, 0xbbad, v91
	v_add_f16_e32 v22, v28, v22
	v_add_f16_e32 v23, v65, v23
	;; [unrolled: 1-line block ×3, first 2 shown]
	v_fma_f16 v88, v93, 0x36a6, -v123
	v_mul_f16_e32 v111, 0x36a6, v79
	v_add_f16_e64 v136, v147, v136
	v_fma_f16 v147, v94, 0x36a6, -v151
	v_add_f16_e32 v99, v100, v99
	v_fma_f16 v100, v93, 0x3abb, -v141
	v_add_f16_e64 v93, v149, v101
	v_fmac_f16_e64 v151, 0x36a6, v94
	v_fmac_f16_e64 v130, 0xb08e, v80
	v_add_f16_e32 v75, v109, v75
	v_sub_f16_e32 v60, v69, v108
	v_add_f16_e32 v25, v107, v67
	v_add_f16_e32 v22, v29, v22
	v_add_f16_e32 v23, v58, v23
	v_mul_f16_e32 v114, 0xb93d, v79
	v_add_f16_e32 v80, v88, v85
	v_fma_f16 v85, v95, 0x3abb, -v127
	v_sub_f16_e32 v82, v82, v110
	v_mul_f16_e32 v116, 0xb08e, v86
	v_add_f16_e64 v88, v151, v93
	v_add_f16_e64 v93, v24, v130
	v_add_f16_e32 v75, v24, v75
	v_add_f16_e32 v57, v63, v60
	v_sub_f16_e32 v60, v70, v113
	v_add_f16_e32 v24, v24, v25
	v_add_f16_e32 v25, v111, v68
	v_add_f16_e32 v22, v26, v22
	v_add_f16_e32 v20, v20, v23
	v_mul_f16_e32 v120, 0xbbad, v86
	v_fmac_f16_e64 v134, 0xbbad, v79
	v_add_f16_e32 v79, v85, v80
	v_fma_f16 v80, v96, 0xb93d, -v131
	v_add_f16_e32 v82, v63, v82
	v_sub_f16_e32 v85, v87, v115
	v_add_f16_e32 v83, v114, v83
	v_mul_f16_e32 v124, 0xb93d, v91
	v_add_f16_e32 v28, v60, v57
	v_sub_f16_e32 v29, v72, v119
	v_add_f16_e32 v24, v25, v24
	v_add_f16_e32 v25, v116, v71
	;; [unrolled: 1-line block ×4, first 2 shown]
	v_mul_f16_e32 v126, 0xb08e, v91
	v_add_f16_e64 v136, v147, v136
	v_fma_f16 v147, 0xb08e, v96, v152
	v_add_f16_e64 v87, v134, v93
	v_fmac_f16_e64 v137, 0x36a6, v86
	v_add_f16_e32 v79, v80, v79
	v_add_f16_e32 v80, v85, v82
	v_sub_f16_e32 v82, v90, v121
	v_add_f16_e32 v75, v83, v75
	v_add_f16_e32 v83, v120, v84
	v_mul_f16_e64 v129, 0xbbad, v94
	v_mul_f16_e64 v132, 0xb482, v105
	v_add_f16_e32 v23, v29, v28
	v_sub_f16_e32 v26, v74, v125
	v_add_f16_e32 v24, v25, v24
	v_add_f16_e32 v25, v124, v73
	;; [unrolled: 1-line block ×4, first 2 shown]
	v_add_f16_e64 v140, v147, v140
	v_mul_f16_e64 v147, 0x3abb, v94
	v_mul_f16_e32 v105, 0x3853, v105
	v_add_f16_e64 v85, v137, v87
	v_fmac_f16_e64 v139, 0x3abb, v91
	v_add_f16_e32 v80, v82, v80
	v_sub_f16_e64 v82, v92, v128
	v_add_f16_e32 v75, v83, v75
	v_add_f16_e32 v81, v126, v81
	;; [unrolled: 1-line block ×3, first 2 shown]
	v_fma_f16 v100, v95, 0xbbad, -v143
	v_add_f16_e32 v23, v26, v23
	v_sub_f16_e64 v26, v77, v132
	v_add_f16_e32 v24, v25, v24
	v_add_f16_e64 v25, v129, v76
	v_add_f16_e32 v22, v31, v22
	v_add_f16_e32 v20, v64, v20
	v_add_f16_e64 v85, v139, v85
	v_fmac_f16_e64 v142, 0xb93d, v94
	v_add_f16_e32 v80, v82, v80
	v_sub_f16_e32 v82, v89, v105
	v_add_f16_e32 v69, v81, v75
	v_add_f16_e64 v27, v147, v78
	v_fmac_f16_e32 v103, 0xb08e, v94
	v_add_f16_e32 v99, v100, v99
	v_fma_f16 v100, v96, 0x36a6, -v145
	v_add_f16_e32 v23, v26, v23
	v_add_f16_e32 v24, v25, v24
	v_and_b32_e32 v25, 0xffff, v34
	v_add_f16_e32 v22, v61, v22
	v_add_f16_e32 v20, v62, v20
	v_add_f16_e32 v59, v82, v80
	v_add_f16_e32 v26, v27, v69
	v_add_f16_e64 v27, v142, v85
	v_add_f16_e32 v97, v103, v97
	v_add_f16_e32 v99, v100, v99
	v_lshlrev_b32_e32 v25, 2, v25
	v_pack_b32_f16 v23, v24, v23
	v_pack_b32_f16 v20, v22, v20
	;; [unrolled: 1-line block ×9, first 2 shown]
	v_perm_b32 v31, v55, v21, 0x5040100
	v_perm_b32 v34, v54, v18, 0x5040100
	ds_store_2addr_b32 v25, v20, v23 offset1:1
	ds_store_2addr_b32 v25, v22, v24 offset0:2 offset1:3
	ds_store_2addr_b32 v25, v27, v26 offset0:4 offset1:5
	ds_store_2addr_b32 v25, v29, v28 offset0:6 offset1:7
	ds_store_2addr_b32 v25, v30, v31 offset0:8 offset1:9
	ds_store_b32 v25, v34 offset:40
.LBB0_17:
	s_wait_alu 0xfffe
	s_or_b32 exec_lo, exec_lo, s1
	global_wb scope:SCOPE_SE
	s_wait_dscnt 0x0
	s_barrier_signal -1
	s_barrier_wait -1
	global_inv scope:SCOPE_SE
	ds_load_2addr_b32 v[24:25], v32 offset1:44
	ds_load_2addr_b32 v[26:27], v32 offset0:88 offset1:132
	ds_load_2addr_b32 v[28:29], v32 offset0:176 offset1:220
	v_add_nc_u32_e32 v22, 0x400, v32
	ds_load_b32 v20, v32 offset:1408
	ds_load_2addr_b32 v[30:31], v22 offset0:8 offset1:52
	global_wb scope:SCOPE_SE
	s_wait_dscnt 0x0
	s_barrier_signal -1
	s_barrier_wait -1
	global_inv scope:SCOPE_SE
	v_lshrrev_b32_e32 v23, 16, v25
	v_lshrrev_b32_e32 v56, 16, v26
	;; [unrolled: 1-line block ×5, first 2 shown]
	v_mul_f16_e32 v61, v53, v25
	v_mul_f16_e32 v62, v51, v26
	;; [unrolled: 1-line block ×6, first 2 shown]
	v_lshrrev_b32_e32 v60, 16, v20
	v_lshrrev_b32_e32 v65, 16, v31
	v_fma_f16 v23, v0, v23, -v61
	v_fma_f16 v56, v1, v56, -v62
	;; [unrolled: 1-line block ×3, first 2 shown]
	v_fmac_f16_e32 v53, v0, v25
	v_fmac_f16_e32 v51, v1, v26
	;; [unrolled: 1-line block ×3, first 2 shown]
	v_mul_f16_e32 v0, v49, v58
	v_mul_f16_e32 v1, v49, v28
	;; [unrolled: 1-line block ×4, first 2 shown]
	v_lshrrev_b32_e32 v64, 16, v30
	v_fmac_f16_e32 v0, v3, v28
	v_fma_f16 v1, v3, v58, -v1
	v_fmac_f16_e32 v2, v4, v29
	v_fma_f16 v3, v4, v59, -v25
	v_mul_f16_e32 v4, v47, v60
	v_mul_f16_e32 v25, v47, v20
	;; [unrolled: 1-line block ×6, first 2 shown]
	v_fmac_f16_e32 v4, v7, v20
	v_fma_f16 v7, v7, v60, -v25
	v_fmac_f16_e32 v27, v6, v31
	v_fma_f16 v6, v6, v65, -v29
	;; [unrolled: 2-line block ×3, first 2 shown]
	v_add_f16_e32 v25, v53, v4
	v_add_f16_e32 v28, v23, v7
	;; [unrolled: 1-line block ×4, first 2 shown]
	v_sub_f16_e32 v4, v53, v4
	v_add_f16_e32 v31, v52, v26
	v_add_f16_e32 v45, v57, v5
	;; [unrolled: 1-line block ×4, first 2 shown]
	v_sub_f16_e32 v7, v23, v7
	v_sub_f16_e32 v27, v51, v27
	v_mul_f16_e32 v23, 0x3924, v4
	v_sub_f16_e32 v49, v1, v3
	v_add_f16_e32 v63, v31, v59
	v_add_f16_e32 v64, v45, v60
	v_sub_f16_e32 v26, v52, v26
	v_fmac_f16_e32 v23, 0x3be1, v27
	v_sub_f16_e32 v48, v0, v2
	v_add_f16_e32 v51, v0, v2
	v_add_f16_e32 v52, v1, v3
	v_mul_f16_e32 v53, 0xb924, v49
	v_add_f16_e32 v0, v0, v63
	v_add_f16_e32 v1, v1, v64
	v_lshrrev_b32_e32 v34, 16, v24
	v_sub_f16_e32 v5, v57, v5
	v_fmac_f16_e32 v23, 0x3aee, v26
	v_fmac_f16_e32 v53, 0x3be1, v7
	v_add_f16_e32 v0, v2, v0
	v_add_f16_e32 v1, v3, v1
	v_sub_f16_e32 v6, v56, v6
	v_fmamk_f16 v56, v51, 0x3a21, v24
	v_mul_f16_e32 v20, 0x3924, v7
	v_fmamk_f16 v46, v25, 0x3a21, v24
	v_fmamk_f16 v47, v28, 0x3a21, v34
	v_fmac_f16_e32 v23, 0x3579, v48
	v_mul_f16_e32 v57, 0xb924, v48
	v_fmamk_f16 v58, v52, 0x3a21, v34
	v_fmac_f16_e32 v53, 0xbaee, v5
	v_add_f16_e32 v61, v48, v4
	v_add_f16_e32 v62, v49, v7
	;; [unrolled: 1-line block ×4, first 2 shown]
	v_mul_f16_e32 v3, 0x3be1, v48
	v_mul_f16_e32 v48, 0x3be1, v49
	v_add_f16_e32 v0, v0, v24
	v_add_f16_e32 v1, v1, v34
	v_fmac_f16_e32 v24, 0x3a21, v29
	v_fmac_f16_e32 v34, 0x3a21, v30
	v_fmac_f16_e32 v56, 0x318f, v25
	v_fmac_f16_e32 v20, 0x3be1, v6
	v_fmac_f16_e32 v53, 0x3579, v6
	v_sub_f16_e32 v62, v62, v6
	v_fma_f16 v3, v27, 0xb924, -v3
	v_fma_f16 v6, v6, 0xb924, -v48
	v_fmac_f16_e32 v24, 0x318f, v51
	v_fmac_f16_e32 v34, 0x318f, v52
	;; [unrolled: 1-line block ×4, first 2 shown]
	v_fmac_f16_e32 v56, -0.5, v31
	v_fmac_f16_e32 v46, 0x318f, v29
	v_fmac_f16_e32 v47, 0x318f, v30
	;; [unrolled: 1-line block ×4, first 2 shown]
	v_fmac_f16_e32 v24, -0.5, v31
	v_fmac_f16_e32 v34, -0.5, v45
	v_fmac_f16_e32 v57, 0xbaee, v26
	v_fmac_f16_e32 v58, -0.5, v45
	v_fmac_f16_e32 v56, 0xbb84, v29
	v_add_f16_e32 v2, v51, v59
	v_add_f16_e32 v29, v52, v60
	v_fmac_f16_e32 v20, 0x3aee, v5
	v_fmac_f16_e32 v46, -0.5, v31
	v_fmac_f16_e32 v47, -0.5, v45
	v_fmac_f16_e32 v3, 0x3579, v4
	v_fmac_f16_e32 v6, 0x3579, v7
	;; [unrolled: 1-line block ×6, first 2 shown]
	v_sub_f16_e32 v61, v61, v27
	v_fmac_f16_e32 v64, -0.5, v2
	v_fmac_f16_e32 v65, -0.5, v29
	v_fmac_f16_e32 v20, 0x3579, v49
	v_fmac_f16_e32 v46, 0xbb84, v51
	;; [unrolled: 1-line block ×3, first 2 shown]
	v_sub_f16_e32 v4, v24, v6
	v_add_f16_e32 v5, v3, v34
	v_sub_f16_e32 v56, v56, v53
	v_add_f16_e32 v58, v57, v58
	v_mul_f16_e32 v63, 0x3aee, v61
	v_mul_f16_e32 v2, 0x3aee, v62
	v_fmac_f16_e32 v64, 0xbaee, v62
	v_fmac_f16_e32 v65, 0x3aee, v61
	v_sub_f16_e32 v46, v46, v20
	v_add_f16_e32 v47, v23, v47
	v_fma_f16 v6, 2.0, v6, v4
	v_fma_f16 v3, -2.0, v3, v5
	v_fma_f16 v53, 2.0, v53, v56
	v_fma_f16 v7, -2.0, v57, v58
	;; [unrolled: 2-line block ×4, first 2 shown]
	v_pack_b32_f16 v0, v0, v1
	v_pack_b32_f16 v1, v46, v47
	;; [unrolled: 1-line block ×9, first 2 shown]
	ds_store_2addr_b32 v35, v0, v1 offset1:11
	ds_store_2addr_b32 v35, v25, v26 offset0:22 offset1:33
	ds_store_2addr_b32 v35, v4, v3 offset0:44 offset1:55
	;; [unrolled: 1-line block ×3, first 2 shown]
	ds_store_b32 v35, v6 offset:352
	global_wb scope:SCOPE_SE
	s_wait_dscnt 0x0
	s_barrier_signal -1
	s_barrier_wait -1
	global_inv scope:SCOPE_SE
	ds_load_2addr_b32 v[0:1], v32 offset1:44
	ds_load_2addr_b32 v[6:7], v32 offset0:99 offset1:143
	ds_load_2addr_b32 v[4:5], v32 offset0:198 offset1:242
	;; [unrolled: 1-line block ×3, first 2 shown]
	s_and_saveexec_b32 s1, s0
	s_cbranch_execz .LBB0_19
; %bb.18:
	ds_load_2addr_b32 v[20:21], v32 offset0:88 offset1:187
	ds_load_2addr_b32 v[18:19], v22 offset0:30 offset1:129
	s_wait_dscnt 0x1
	v_lshrrev_b32_e32 v23, 16, v20
	v_lshrrev_b32_e32 v55, 16, v21
	s_wait_dscnt 0x0
	v_lshrrev_b32_e32 v54, 16, v18
	v_lshrrev_b32_e32 v50, 16, v19
.LBB0_19:
	s_wait_alu 0xfffe
	s_or_b32 exec_lo, exec_lo, s1
	s_wait_dscnt 0x1
	v_lshrrev_b32_e32 v26, 16, v4
	v_lshrrev_b32_e32 v25, 16, v6
	s_wait_dscnt 0x0
	v_lshrrev_b32_e32 v27, 16, v2
	v_lshrrev_b32_e32 v29, 16, v7
	;; [unrolled: 1-line block ×3, first 2 shown]
	v_mul_f16_e32 v35, v43, v26
	v_mul_f16_e32 v31, v44, v25
	;; [unrolled: 1-line block ×4, first 2 shown]
	v_lshrrev_b32_e32 v44, 16, v3
	v_fmac_f16_e32 v35, v15, v4
	v_mul_f16_e32 v4, v42, v27
	v_fmac_f16_e32 v31, v14, v6
	v_fma_f16 v6, v14, v25, -v34
	v_fma_f16 v14, v15, v26, -v43
	v_mul_f16_e32 v15, v42, v2
	v_mul_f16_e32 v25, v41, v29
	;; [unrolled: 1-line block ×3, first 2 shown]
	v_fmac_f16_e32 v4, v16, v2
	v_mul_f16_e32 v2, v40, v30
	v_fma_f16 v15, v16, v27, -v15
	v_fmac_f16_e32 v25, v11, v7
	v_fma_f16 v7, v11, v29, -v26
	v_mul_f16_e32 v26, v39, v44
	v_fmac_f16_e32 v2, v12, v5
	v_mul_f16_e32 v5, v40, v5
	v_mul_f16_e32 v27, v39, v3
	v_lshrrev_b32_e32 v24, 16, v0
	v_lshrrev_b32_e32 v28, 16, v1
	v_fmac_f16_e32 v26, v13, v3
	v_fma_f16 v5, v12, v30, -v5
	v_fma_f16 v3, v13, v44, -v27
	v_sub_f16_e32 v11, v0, v35
	v_sub_f16_e32 v4, v31, v4
	;; [unrolled: 1-line block ×8, first 2 shown]
	v_fma_f16 v0, v0, 2.0, -v11
	v_fma_f16 v16, v31, 2.0, -v4
	;; [unrolled: 1-line block ×4, first 2 shown]
	v_add_f16_e32 v13, v11, v15
	v_fma_f16 v1, v1, 2.0, -v2
	v_fma_f16 v15, v28, 2.0, -v5
	;; [unrolled: 1-line block ×4, first 2 shown]
	v_sub_f16_e32 v16, v0, v16
	v_sub_f16_e32 v6, v24, v6
	;; [unrolled: 1-line block ×5, first 2 shown]
	v_add_f16_e32 v3, v2, v3
	v_sub_f16_e32 v12, v5, v12
	v_fma_f16 v0, v0, 2.0, -v16
	v_fma_f16 v24, v24, 2.0, -v6
	v_fma_f16 v1, v1, 2.0, -v25
	v_fma_f16 v15, v15, 2.0, -v7
	v_fma_f16 v11, v11, 2.0, -v13
	v_fma_f16 v14, v14, 2.0, -v4
	v_fma_f16 v2, v2, 2.0, -v3
	v_fma_f16 v5, v5, 2.0, -v12
	v_pack_b32_f16 v0, v0, v24
	v_pack_b32_f16 v1, v1, v15
	;; [unrolled: 1-line block ×8, first 2 shown]
	ds_store_2addr_b32 v32, v0, v1 offset1:44
	ds_store_2addr_b32 v32, v11, v2 offset0:99 offset1:143
	ds_store_2addr_b32 v32, v6, v5 offset0:198 offset1:242
	ds_store_2addr_b32 v22, v4, v3 offset0:41 offset1:85
	s_and_saveexec_b32 s1, s0
	s_cbranch_execz .LBB0_21
; %bb.20:
	v_mul_f16_e32 v0, v38, v54
	v_mul_f16_e32 v1, v37, v21
	;; [unrolled: 1-line block ×6, first 2 shown]
	v_fmac_f16_e32 v0, v9, v18
	v_fma_f16 v1, v8, v55, -v1
	v_fmac_f16_e32 v3, v8, v21
	v_fmac_f16_e32 v4, v10, v19
	v_fma_f16 v2, v9, v54, -v2
	v_fma_f16 v5, v10, v50, -v5
	v_sub_f16_e32 v0, v20, v0
	s_delay_alu instid0(VALU_DEP_4) | instskip(NEXT) | instid1(VALU_DEP_4)
	v_sub_f16_e32 v4, v3, v4
	v_sub_f16_e32 v2, v23, v2
	s_delay_alu instid0(VALU_DEP_4) | instskip(NEXT) | instid1(VALU_DEP_4)
	v_sub_f16_e32 v5, v1, v5
	v_fma_f16 v6, v20, 2.0, -v0
	s_delay_alu instid0(VALU_DEP_4) | instskip(NEXT) | instid1(VALU_DEP_4)
	v_fma_f16 v3, v3, 2.0, -v4
	v_fma_f16 v7, v23, 2.0, -v2
	s_delay_alu instid0(VALU_DEP_4) | instskip(SKIP_3) | instid1(VALU_DEP_4)
	v_fma_f16 v1, v1, 2.0, -v5
	v_add_f16_e32 v5, v0, v5
	v_sub_f16_e32 v4, v2, v4
	v_sub_f16_e32 v3, v6, v3
	;; [unrolled: 1-line block ×3, first 2 shown]
	s_delay_alu instid0(VALU_DEP_4) | instskip(NEXT) | instid1(VALU_DEP_4)
	v_fma_f16 v0, v0, 2.0, -v5
	v_fma_f16 v2, v2, 2.0, -v4
	s_delay_alu instid0(VALU_DEP_4)
	v_fma_f16 v6, v6, 2.0, -v3
	v_pack_b32_f16 v4, v5, v4
	v_fma_f16 v7, v7, 2.0, -v1
	v_add_nc_u32_e32 v5, 0x400, v32
	v_pack_b32_f16 v0, v0, v2
	v_pack_b32_f16 v1, v3, v1
	s_delay_alu instid0(VALU_DEP_4)
	v_pack_b32_f16 v2, v6, v7
	ds_store_2addr_b32 v32, v2, v0 offset0:88 offset1:187
	ds_store_2addr_b32 v5, v1, v4 offset0:30 offset1:129
.LBB0_21:
	s_wait_alu 0xfffe
	s_or_b32 exec_lo, exec_lo, s1
	global_wb scope:SCOPE_SE
	s_wait_dscnt 0x0
	s_barrier_signal -1
	s_barrier_wait -1
	global_inv scope:SCOPE_SE
	s_and_b32 exec_lo, exec_lo, vcc_lo
	s_cbranch_execz .LBB0_23
; %bb.22:
	s_clause 0x6
	global_load_b32 v0, v32, s[12:13]
	global_load_b32 v1, v32, s[12:13] offset:144
	global_load_b32 v6, v32, s[12:13] offset:288
	;; [unrolled: 1-line block ×6, first 2 shown]
	ds_load_2addr_b32 v[11:12], v32 offset0:36 offset1:72
	ds_load_b32 v23, v32
	ds_load_2addr_b32 v[15:16], v32 offset0:108 offset1:144
	ds_load_2addr_b32 v[18:19], v32 offset0:180 offset1:216
	v_mad_co_u64_u32 v[9:10], null, s6, v17, 0
	v_mad_co_u64_u32 v[13:14], null, s4, v33, 0
	s_mov_b32 s22, 0xa052bf5b
	s_mov_b32 s23, 0x3f64afd6
	s_mul_u64 s[20:21], s[4:5], 0x90
	s_clause 0x3
	global_load_b32 v3, v32, s[12:13] offset:1008
	global_load_b32 v2, v32, s[12:13] offset:1152
	;; [unrolled: 1-line block ×4, first 2 shown]
	s_wait_dscnt 0x3
	v_mad_co_u64_u32 v[20:21], null, s7, v17, v[10:11]
	s_wait_dscnt 0x2
	v_lshrrev_b32_e32 v17, 16, v23
	s_wait_dscnt 0x1
	v_mad_co_u64_u32 v[21:22], null, s5, v33, v[14:15]
	v_lshrrev_b32_e32 v22, 16, v11
	v_lshrrev_b32_e32 v25, 16, v12
	;; [unrolled: 1-line block ×3, first 2 shown]
	v_mov_b32_e32 v10, v20
	v_lshrrev_b32_e32 v27, 16, v16
	s_wait_dscnt 0x0
	v_lshrrev_b32_e32 v28, 16, v18
	v_mov_b32_e32 v14, v21
	v_lshrrev_b32_e32 v36, 16, v19
	v_lshlrev_b64_e32 v[9:10], 2, v[9:10]
	s_delay_alu instid0(VALU_DEP_3)
	v_lshlrev_b64_e32 v[13:14], 2, v[13:14]
	s_wait_loadcnt 0xa
	v_lshrrev_b32_e32 v20, 16, v0
	s_wait_loadcnt 0x9
	v_lshrrev_b32_e32 v21, 16, v1
	;; [unrolled: 2-line block ×5, first 2 shown]
	v_mul_f16_e32 v29, v17, v20
	v_mul_f16_e32 v20, v23, v20
	;; [unrolled: 1-line block ×4, first 2 shown]
	s_wait_loadcnt 0x5
	v_lshrrev_b32_e32 v34, 16, v24
	v_fmac_f16_e32 v29, v23, v0
	v_mul_f16_e32 v23, v22, v21
	v_fma_f16 v0, v0, v17, -v20
	v_mul_f16_e32 v17, v12, v30
	v_fmac_f16_e32 v38, v12, v6
	v_cvt_f32_f16_e32 v21, v29
	v_fmac_f16_e32 v23, v11, v1
	v_cvt_f32_f16_e32 v0, v0
	v_fma_f16 v11, v1, v22, -v37
	v_mul_f16_e32 v29, v26, v31
	v_cvt_f64_f32_e32 v[20:21], v21
	v_cvt_f32_f16_e32 v22, v23
	v_cvt_f64_f32_e32 v[0:1], v0
	v_cvt_f32_f16_e32 v23, v11
	v_mul_f16_e32 v30, v15, v31
	v_fma_f16 v6, v6, v25, -v17
	v_cvt_f64_f32_e32 v[11:12], v22
	v_cvt_f32_f16_e32 v17, v38
	v_cvt_f64_f32_e32 v[22:23], v23
	v_mul_f16_e32 v31, v27, v33
	v_fmac_f16_e32 v29, v15, v7
	v_cvt_f32_f16_e32 v15, v6
	v_fma_f16 v26, v7, v26, -v30
	v_cvt_f64_f32_e32 v[6:7], v17
	v_mul_f16_e32 v33, v16, v33
	v_mul_f16_e32 v37, v28, v34
	v_fmac_f16_e32 v31, v16, v8
	v_cvt_f32_f16_e32 v17, v29
	v_cvt_f64_f32_e32 v[15:16], v15
	v_mul_f16_e32 v25, v18, v34
	v_fmac_f16_e32 v37, v18, v24
	v_cvt_f32_f16_e32 v26, v26
	v_cvt_f64_f32_e32 v[17:18], v17
	v_fma_f16 v8, v8, v27, -v33
	v_fma_f16 v27, v24, v28, -v25
	v_cvt_f32_f16_e32 v28, v31
	v_cvt_f64_f32_e32 v[24:25], v26
	v_cvt_f32_f16_e32 v30, v37
	v_cvt_f32_f16_e32 v8, v8
	;; [unrolled: 1-line block ×3, first 2 shown]
	v_cvt_f64_f32_e32 v[26:27], v28
	s_wait_loadcnt 0x4
	v_lshrrev_b32_e32 v37, 16, v35
	v_cvt_f64_f32_e32 v[30:31], v30
	v_cvt_f64_f32_e32 v[28:29], v8
	v_add_co_u32 v8, vcc_lo, s8, v9
	v_add_co_ci_u32_e32 v9, vcc_lo, s9, v10, vcc_lo
	v_mul_f64_e32 v[20:21], s[22:23], v[20:21]
	s_delay_alu instid0(VALU_DEP_3)
	v_add_co_u32 v8, vcc_lo, v8, v13
	v_mul_f64_e32 v[0:1], s[22:23], v[0:1]
	v_cvt_f64_f32_e32 v[33:34], v33
	s_wait_alu 0xfffd
	v_add_co_ci_u32_e32 v9, vcc_lo, v9, v14, vcc_lo
	v_mul_f64_e32 v[10:11], s[22:23], v[11:12]
	v_mul_f64_e32 v[12:13], s[22:23], v[22:23]
	v_mul_f16_e32 v38, v36, v37
	v_mul_f16_e32 v14, v19, v37
	v_add_co_u32 v22, vcc_lo, v8, s20
	v_mul_f64_e32 v[6:7], s[22:23], v[6:7]
	s_delay_alu instid0(VALU_DEP_4) | instskip(NEXT) | instid1(VALU_DEP_4)
	v_fmac_f16_e32 v38, v19, v35
	v_fma_f16 v19, v35, v36, -v14
	s_wait_alu 0xfffd
	v_add_co_ci_u32_e32 v23, vcc_lo, s21, v9, vcc_lo
	v_mul_f64_e32 v[14:15], s[22:23], v[15:16]
	v_add_co_u32 v35, vcc_lo, v22, s20
	v_cvt_f32_f16_e32 v39, v19
	v_mul_f64_e32 v[16:17], s[22:23], v[17:18]
	s_wait_alu 0xfffd
	v_add_co_ci_u32_e32 v36, vcc_lo, s21, v23, vcc_lo
	v_cvt_f32_f16_e32 v37, v38
	v_mul_f64_e32 v[18:19], s[22:23], v[24:25]
	v_add_co_u32 v24, vcc_lo, v35, s20
	s_wait_alu 0xfffd
	v_add_co_ci_u32_e32 v25, vcc_lo, s21, v36, vcc_lo
	v_mul_f64_e32 v[26:27], s[22:23], v[26:27]
	v_mul_f64_e32 v[30:31], s[22:23], v[30:31]
	;; [unrolled: 1-line block ×3, first 2 shown]
	v_cvt_f64_f32_e32 v[37:38], v37
	v_cvt_f64_f32_e32 v[39:40], v39
	v_and_or_b32 v20, 0x1ff, v21, v20
	v_lshrrev_b32_e32 v41, 8, v21
	v_bfe_u32 v42, v21, 20, 11
	v_and_or_b32 v0, 0x1ff, v1, v0
	v_mul_f64_e32 v[33:34], s[22:23], v[33:34]
	v_cmp_ne_u32_e32 vcc_lo, 0, v20
	v_lshrrev_b32_e32 v43, 8, v1
	v_and_or_b32 v10, 0x1ff, v11, v10
	v_and_or_b32 v12, 0x1ff, v13, v12
	v_bfe_u32 v44, v1, 20, 11
	s_wait_alu 0xfffd
	v_cndmask_b32_e64 v20, 0, 1, vcc_lo
	v_cmp_ne_u32_e32 vcc_lo, 0, v0
	v_lshrrev_b32_e32 v45, 8, v11
	v_and_or_b32 v6, 0x1ff, v7, v6
	v_bfe_u32 v46, v11, 20, 11
	v_and_or_b32 v20, 0xffe, v41, v20
	s_wait_alu 0xfffd
	v_cndmask_b32_e64 v0, 0, 1, vcc_lo
	v_cmp_ne_u32_e32 vcc_lo, 0, v10
	v_and_or_b32 v14, 0x1ff, v15, v14
	v_sub_nc_u32_e32 v65, 0x3f1, v42
	v_add_nc_u32_e32 v42, 0xfffffc10, v42
	v_and_or_b32 v0, 0xffe, v43, v0
	s_wait_alu 0xfffd
	v_cndmask_b32_e64 v10, 0, 1, vcc_lo
	v_cmp_ne_u32_e32 vcc_lo, 0, v12
	v_and_or_b32 v16, 0x1ff, v17, v16
	v_lshrrev_b32_e32 v47, 8, v13
	v_and_or_b32 v18, 0x1ff, v19, v18
	v_bfe_u32 v48, v13, 20, 11
	s_wait_alu 0xfffd
	v_cndmask_b32_e64 v12, 0, 1, vcc_lo
	v_cmp_ne_u32_e32 vcc_lo, 0, v6
	v_bfe_u32 v50, v7, 20, 11
	v_and_or_b32 v26, 0x1ff, v27, v26
	v_and_or_b32 v30, 0x1ff, v31, v30
	;; [unrolled: 1-line block ×3, first 2 shown]
	s_wait_alu 0xfffd
	v_cndmask_b32_e64 v6, 0, 1, vcc_lo
	v_cmp_ne_u32_e32 vcc_lo, 0, v14
	v_sub_nc_u32_e32 v66, 0x3f1, v44
	v_add_nc_u32_e32 v44, 0xfffffc10, v44
	v_sub_nc_u32_e32 v67, 0x3f1, v46
	v_med3_i32 v41, v65, 0, 13
	s_wait_alu 0xfffd
	v_cndmask_b32_e64 v14, 0, 1, vcc_lo
	v_cmp_ne_u32_e32 vcc_lo, 0, v16
	v_and_or_b32 v33, 0x1ff, v34, v33
	v_lshrrev_b32_e32 v63, 8, v34
	v_and_or_b32 v10, 0xffe, v45, v10
	v_lshl_or_b32 v65, v42, 12, v20
	s_wait_alu 0xfffd
	v_cndmask_b32_e64 v16, 0, 1, vcc_lo
	v_cmp_ne_u32_e32 vcc_lo, 0, v18
	v_lshrrev_b32_e32 v49, 8, v7
	v_bfe_u32 v52, v15, 20, 11
	v_bfe_u32 v54, v17, 20, 11
	v_add_nc_u32_e32 v46, 0xfffffc10, v46
	s_wait_alu 0xfffd
	v_cndmask_b32_e64 v18, 0, 1, vcc_lo
	v_cmp_ne_u32_e32 vcc_lo, 0, v26
	v_sub_nc_u32_e32 v68, 0x3f1, v48
	v_sub_nc_u32_e32 v69, 0x3f1, v50
	v_med3_i32 v43, v66, 0, 13
	v_med3_i32 v45, v67, 0, 13
	s_wait_alu 0xfffd
	v_cndmask_b32_e64 v26, 0, 1, vcc_lo
	v_cmp_ne_u32_e32 vcc_lo, 0, v28
	v_and_or_b32 v12, 0xffe, v47, v12
	v_or_b32_e32 v66, 0x1000, v0
	v_lshl_or_b32 v67, v44, 12, v0
	v_lshrrev_b32_e32 v51, 8, v15
	s_wait_alu 0xfffd
	v_cndmask_b32_e64 v28, 0, 1, vcc_lo
	v_cmp_ne_u32_e32 vcc_lo, 0, v30
	v_lshrrev_b32_e32 v53, 8, v17
	v_bfe_u32 v56, v19, 20, 11
	v_bfe_u32 v58, v27, 20, 11
	v_add_nc_u32_e32 v48, 0xfffffc10, v48
	s_wait_alu 0xfffd
	v_cndmask_b32_e64 v30, 0, 1, vcc_lo
	v_cmp_ne_u32_e32 vcc_lo, 0, v33
	v_sub_nc_u32_e32 v70, 0x3f1, v52
	v_sub_nc_u32_e32 v71, 0x3f1, v54
	v_med3_i32 v47, v68, 0, 13
	v_and_or_b32 v6, 0xffe, v49, v6
	s_wait_alu 0xfffd
	v_cndmask_b32_e64 v33, 0, 1, vcc_lo
	v_cmp_ne_u32_e32 vcc_lo, 0, v20
	v_med3_i32 v49, v69, 0, 13
	v_or_b32_e32 v68, 0x1000, v10
	v_lshl_or_b32 v69, v46, 12, v10
	v_and_or_b32 v33, 0xffe, v63, v33
	v_or_b32_e32 v63, 0x1000, v20
	s_wait_alu 0xfffd
	v_cndmask_b32_e64 v20, 0, 1, vcc_lo
	v_cmp_ne_u32_e32 vcc_lo, 0, v0
	v_lshrrev_b32_e32 v55, 8, v19
	v_lshrrev_b32_e32 v57, 8, v27
	v_bfe_u32 v60, v29, 20, 11
	v_bfe_u32 v62, v31, 20, 11
	s_wait_alu 0xfffd
	v_cndmask_b32_e64 v0, 0, 1, vcc_lo
	v_cmp_ne_u32_e32 vcc_lo, 0, v10
	v_add_nc_u32_e32 v50, 0xfffffc10, v50
	v_sub_nc_u32_e32 v72, 0x3f1, v56
	v_sub_nc_u32_e32 v73, 0x3f1, v58
	v_and_or_b32 v14, 0xffe, v51, v14
	s_wait_alu 0xfffd
	v_cndmask_b32_e64 v10, 0, 1, vcc_lo
	v_cmp_ne_u32_e32 vcc_lo, 0, v12
	v_med3_i32 v51, v70, 0, 13
	v_and_or_b32 v16, 0xffe, v53, v16
	v_med3_i32 v53, v71, 0, 13
	v_or_b32_e32 v70, 0x1000, v12
	v_lshl_or_b32 v71, v48, 12, v12
	s_wait_alu 0xfffd
	v_cndmask_b32_e64 v12, 0, 1, vcc_lo
	v_cmp_ne_u32_e32 vcc_lo, 0, v6
	v_lshrrev_b32_e32 v59, 8, v29
	v_lshrrev_b32_e32 v61, 8, v31
	v_add_nc_u32_e32 v52, 0xfffffc10, v52
	v_sub_nc_u32_e32 v74, 0x3f1, v60
	v_sub_nc_u32_e32 v75, 0x3f1, v62
	v_and_or_b32 v18, 0xffe, v55, v18
	v_med3_i32 v55, v72, 0, 13
	v_and_or_b32 v26, 0xffe, v57, v26
	v_med3_i32 v57, v73, 0, 13
	v_or_b32_e32 v72, 0x1000, v6
	v_lshl_or_b32 v73, v50, 12, v6
	s_wait_alu 0xfffd
	v_cndmask_b32_e64 v6, 0, 1, vcc_lo
	v_cmp_ne_u32_e32 vcc_lo, 0, v14
	v_add_nc_u32_e32 v54, 0xfffffc10, v54
	v_and_or_b32 v28, 0xffe, v59, v28
	v_med3_i32 v59, v74, 0, 13
	v_and_or_b32 v30, 0xffe, v61, v30
	v_med3_i32 v61, v75, 0, 13
	v_or_b32_e32 v74, 0x1000, v14
	v_lshl_or_b32 v75, v52, 12, v14
	s_wait_alu 0xfffd
	v_cndmask_b32_e64 v14, 0, 1, vcc_lo
	v_cmp_ne_u32_e32 vcc_lo, 0, v16
	v_add_nc_u32_e32 v56, 0xfffffc10, v56
	v_or_b32_e32 v77, 0x1000, v16
	v_lshl_or_b32 v78, v54, 12, v16
	v_add_nc_u32_e32 v58, 0xfffffc10, v58
	s_wait_alu 0xfffd
	v_cndmask_b32_e64 v16, 0, 1, vcc_lo
	v_cmp_ne_u32_e32 vcc_lo, 0, v18
	v_or_b32_e32 v79, 0x1000, v18
	v_lshl_or_b32 v80, v56, 12, v18
	v_lshrrev_b32_e32 v87, v41, v63
	v_add_nc_u32_e32 v60, 0xfffffc10, v60
	s_wait_alu 0xfffd
	v_cndmask_b32_e64 v18, 0, 1, vcc_lo
	v_cmp_ne_u32_e32 vcc_lo, 0, v26
	v_or_b32_e32 v81, 0x1000, v26
	v_lshl_or_b32 v82, v58, 12, v26
	v_lshrrev_b32_e32 v88, v43, v66
	v_lshlrev_b32_e32 v41, v41, v87
	s_wait_alu 0xfffd
	v_cndmask_b32_e64 v26, 0, 1, vcc_lo
	v_cmp_ne_u32_e32 vcc_lo, 0, v28
	v_or_b32_e32 v83, 0x1000, v28
	v_lshl_or_b32 v84, v60, 12, v28
	v_lshrrev_b32_e32 v89, v45, v68
	v_lshlrev_b32_e32 v43, v43, v88
	s_wait_alu 0xfffd
	v_cndmask_b32_e64 v28, 0, 1, vcc_lo
	v_cmp_ne_u32_e32 vcc_lo, v41, v63
	v_lshl_or_b32 v0, v0, 9, 0x7c00
	v_lshrrev_b32_e32 v90, v47, v70
	v_lshlrev_b32_e32 v45, v45, v89
	v_lshl_or_b32 v20, v20, 9, 0x7c00
	s_wait_alu 0xfffd
	v_cndmask_b32_e64 v41, 0, 1, vcc_lo
	v_cmp_ne_u32_e32 vcc_lo, v43, v66
	v_lshrrev_b32_e32 v91, v49, v72
	v_lshlrev_b32_e32 v47, v47, v90
	v_lshl_or_b32 v12, v12, 9, 0x7c00
	v_lshrrev_b32_e32 v92, v51, v74
	s_wait_alu 0xfffd
	v_cndmask_b32_e64 v43, 0, 1, vcc_lo
	v_cmp_ne_u32_e32 vcc_lo, v45, v68
	v_lshlrev_b32_e32 v49, v49, v91
	v_lshl_or_b32 v10, v10, 9, 0x7c00
	v_lshrrev_b32_e32 v93, v53, v77
	v_lshlrev_b32_e32 v51, v51, v92
	s_wait_alu 0xfffd
	v_cndmask_b32_e64 v45, 0, 1, vcc_lo
	v_cmp_ne_u32_e32 vcc_lo, v47, v70
	v_lshl_or_b32 v14, v14, 9, 0x7c00
	v_lshrrev_b32_e32 v94, v55, v79
	v_lshlrev_b32_e32 v53, v53, v93
	v_lshl_or_b32 v16, v16, 9, 0x7c00
	s_wait_alu 0xfffd
	v_cndmask_b32_e64 v47, 0, 1, vcc_lo
	v_cmp_ne_u32_e32 vcc_lo, v49, v72
	v_lshrrev_b32_e32 v95, v57, v81
	v_lshlrev_b32_e32 v55, v55, v94
	v_or_b32_e32 v85, 0x1000, v30
	v_lshl_or_b32 v18, v18, 9, 0x7c00
	s_wait_alu 0xfffd
	v_cndmask_b32_e64 v49, 0, 1, vcc_lo
	v_cmp_ne_u32_e32 vcc_lo, v51, v74
	v_lshrrev_b32_e32 v96, v59, v83
	v_lshlrev_b32_e32 v57, v57, v95
	v_lshl_or_b32 v6, v6, 9, 0x7c00
	v_lshrrev_b32_e32 v97, v61, v85
	s_wait_alu 0xfffd
	v_cndmask_b32_e64 v51, 0, 1, vcc_lo
	v_cmp_ne_u32_e32 vcc_lo, v53, v77
	v_lshlrev_b32_e32 v59, v59, v96
	v_or_b32_e32 v41, v87, v41
	v_lshlrev_b32_e32 v61, v61, v97
	v_or_b32_e32 v43, v88, v43
	s_wait_alu 0xfffd
	v_cndmask_b32_e64 v53, 0, 1, vcc_lo
	v_cmp_ne_u32_e32 vcc_lo, v55, v79
	v_or_b32_e32 v45, v89, v45
	v_or_b32_e32 v47, v90, v47
	;; [unrolled: 1-line block ×4, first 2 shown]
	s_wait_alu 0xfffd
	v_cndmask_b32_e64 v55, 0, 1, vcc_lo
	v_cmp_ne_u32_e32 vcc_lo, v57, v81
	v_or_b32_e32 v53, v93, v53
	v_lshl_or_b32 v26, v26, 9, 0x7c00
	v_lshrrev_b32_e32 v21, 16, v21
	v_or_b32_e32 v55, v94, v55
	s_wait_alu 0xfffd
	v_cndmask_b32_e64 v57, 0, 1, vcc_lo
	v_cmp_ne_u32_e32 vcc_lo, v59, v83
	v_lshrrev_b32_e32 v1, 16, v1
	v_lshrrev_b32_e32 v11, 16, v11
	;; [unrolled: 1-line block ×3, first 2 shown]
	v_or_b32_e32 v57, v95, v57
	s_wait_alu 0xfffd
	v_cndmask_b32_e64 v59, 0, 1, vcc_lo
	v_cmp_ne_u32_e32 vcc_lo, v61, v85
	v_lshrrev_b32_e32 v13, 16, v13
	v_lshrrev_b32_e32 v15, 16, v15
	;; [unrolled: 1-line block ×3, first 2 shown]
	v_or_b32_e32 v59, v96, v59
	s_wait_alu 0xfffd
	v_cndmask_b32_e64 v61, 0, 1, vcc_lo
	v_cmp_gt_i32_e32 vcc_lo, 1, v42
	v_bfe_u32 v64, v34, 20, 11
	v_lshrrev_b32_e32 v19, 16, v19
	v_lshrrev_b32_e32 v27, 16, v27
	v_or_b32_e32 v61, v97, v61
	s_wait_alu 0xfffd
	v_cndmask_b32_e32 v41, v65, v41, vcc_lo
	v_cmp_gt_i32_e32 vcc_lo, 1, v44
	v_sub_nc_u32_e32 v76, 0x3f1, v64
	s_delay_alu instid0(VALU_DEP_3)
	v_and_b32_e32 v63, 7, v41
	s_wait_alu 0xfffd
	v_cndmask_b32_e32 v43, v67, v43, vcc_lo
	v_cmp_gt_i32_e32 vcc_lo, 1, v46
	v_lshrrev_b32_e32 v41, 2, v41
	v_cmp_eq_u32_e64 s0, 3, v63
	s_delay_alu instid0(VALU_DEP_4)
	v_and_b32_e32 v65, 7, v43
	s_wait_alu 0xfffd
	v_cndmask_b32_e32 v45, v69, v45, vcc_lo
	v_cmp_gt_i32_e32 vcc_lo, 1, v48
	v_lshrrev_b32_e32 v43, 2, v43
	v_cmp_lt_i32_e64 s1, 5, v65
	v_cmp_eq_u32_e64 s2, 3, v65
	s_wait_alu 0xfffd
	v_cndmask_b32_e32 v47, v71, v47, vcc_lo
	v_cmp_gt_i32_e32 vcc_lo, 1, v50
	s_delay_alu instid0(VALU_DEP_2)
	v_and_b32_e32 v67, 7, v47
	s_wait_alu 0xfffd
	v_cndmask_b32_e32 v49, v73, v49, vcc_lo
	v_cmp_gt_i32_e32 vcc_lo, 1, v52
	v_lshrrev_b32_e32 v47, 2, v47
	v_cmp_lt_i32_e64 s5, 5, v67
	v_cmp_eq_u32_e64 s6, 3, v67
	s_wait_alu 0xfffd
	v_cndmask_b32_e32 v51, v75, v51, vcc_lo
	v_cmp_gt_i32_e32 vcc_lo, 1, v54
	s_delay_alu instid0(VALU_DEP_2)
	;; [unrolled: 11-line block ×3, first 2 shown]
	v_and_b32_e32 v71, 7, v55
	s_wait_alu 0xfffd
	v_cndmask_b32_e32 v57, v82, v57, vcc_lo
	v_cmp_gt_i32_e32 vcc_lo, 1, v60
	v_lshrrev_b32_e32 v55, 2, v55
	v_cmp_lt_i32_e64 s13, 5, v71
	v_cmp_eq_u32_e64 s14, 3, v71
	s_wait_alu 0xfffd
	v_cndmask_b32_e32 v59, v84, v59, vcc_lo
	v_cmp_lt_i32_e32 vcc_lo, 5, v63
	s_delay_alu instid0(VALU_DEP_2)
	v_and_b32_e32 v73, 7, v59
	s_or_b32 vcc_lo, s0, vcc_lo
	v_lshrrev_b32_e32 v59, 2, v59
	s_wait_alu 0xfffe
	v_add_co_ci_u32_e32 v41, vcc_lo, 0, v41, vcc_lo
	s_or_b32 vcc_lo, s2, s1
	v_cmp_lt_i32_e64 s17, 5, v73
	s_wait_alu 0xfffe
	v_add_co_ci_u32_e32 v43, vcc_lo, 0, v43, vcc_lo
	v_and_b32_e32 v66, 7, v45
	v_lshrrev_b32_e32 v45, 2, v45
	v_cmp_eq_u32_e64 s18, 3, v73
	s_delay_alu instid0(VALU_DEP_3) | instskip(SKIP_1) | instid1(VALU_DEP_1)
	v_cmp_lt_i32_e64 s3, 5, v66
	v_cmp_eq_u32_e64 s4, 3, v66
	s_or_b32 vcc_lo, s4, s3
	s_wait_alu 0xfffe
	v_add_co_ci_u32_e32 v45, vcc_lo, 0, v45, vcc_lo
	s_or_b32 vcc_lo, s6, s5
	s_wait_alu 0xfffe
	v_add_co_ci_u32_e32 v47, vcc_lo, 0, v47, vcc_lo
	v_and_b32_e32 v68, 7, v49
	v_lshrrev_b32_e32 v49, 2, v49
	s_delay_alu instid0(VALU_DEP_2) | instskip(SKIP_1) | instid1(VALU_DEP_1)
	v_cmp_lt_i32_e64 s7, 5, v68
	v_cmp_eq_u32_e64 s8, 3, v68
	s_or_b32 vcc_lo, s8, s7
	s_wait_alu 0xfffe
	v_add_co_ci_u32_e32 v49, vcc_lo, 0, v49, vcc_lo
	s_or_b32 vcc_lo, s10, s9
	s_wait_alu 0xfffe
	v_add_co_ci_u32_e32 v51, vcc_lo, 0, v51, vcc_lo
	v_and_b32_e32 v70, 7, v53
	v_lshrrev_b32_e32 v53, 2, v53
	s_delay_alu instid0(VALU_DEP_2) | instskip(SKIP_1) | instid1(VALU_DEP_1)
	;; [unrolled: 11-line block ×3, first 2 shown]
	v_cmp_lt_i32_e64 s15, 5, v72
	v_cmp_eq_u32_e64 s16, 3, v72
	s_or_b32 vcc_lo, s16, s15
	s_wait_alu 0xfffe
	v_add_co_ci_u32_e32 v57, vcc_lo, 0, v57, vcc_lo
	s_or_b32 vcc_lo, s18, s17
	s_wait_alu 0xfffe
	v_add_co_ci_u32_e32 v59, vcc_lo, 0, v59, vcc_lo
	v_cmp_gt_i32_e32 vcc_lo, 31, v42
	s_wait_alu 0xfffd
	v_cndmask_b32_e32 v41, 0x7c00, v41, vcc_lo
	v_cmp_gt_i32_e32 vcc_lo, 31, v44
	s_wait_alu 0xfffd
	v_cndmask_b32_e32 v43, 0x7c00, v43, vcc_lo
	;; [unrolled: 3-line block ×10, first 2 shown]
	v_cmp_eq_u32_e32 vcc_lo, 0x40f, v42
	s_wait_alu 0xfffd
	v_cndmask_b32_e32 v20, v41, v20, vcc_lo
	v_cmp_eq_u32_e32 vcc_lo, 0x40f, v44
	s_delay_alu instid0(VALU_DEP_2) | instskip(SKIP_3) | instid1(VALU_DEP_2)
	v_and_or_b32 v20, 0x8000, v21, v20
	s_wait_alu 0xfffd
	v_cndmask_b32_e32 v0, v43, v0, vcc_lo
	v_cmp_eq_u32_e32 vcc_lo, 0x40f, v46
	v_and_or_b32 v0, 0x8000, v1, v0
	s_wait_alu 0xfffd
	v_cndmask_b32_e32 v10, v45, v10, vcc_lo
	v_cmp_eq_u32_e32 vcc_lo, 0x40f, v48
	s_delay_alu instid0(VALU_DEP_2) | instskip(SKIP_3) | instid1(VALU_DEP_3)
	v_and_or_b32 v1, 0x8000, v11, v10
	s_wait_alu 0xfffd
	v_cndmask_b32_e32 v12, v47, v12, vcc_lo
	v_cmp_eq_u32_e32 vcc_lo, 0x40f, v50
	v_and_b32_e32 v1, 0xffff, v1
	s_delay_alu instid0(VALU_DEP_3)
	v_and_or_b32 v10, 0x8000, v13, v12
	s_wait_alu 0xfffd
	v_cndmask_b32_e32 v6, v49, v6, vcc_lo
	v_cmp_eq_u32_e32 vcc_lo, 0x40f, v52
	v_and_b32_e32 v12, 0xffff, v20
	v_lshrrev_b32_e32 v20, 16, v31
	v_lshl_or_b32 v1, v10, 16, v1
	v_and_or_b32 v6, 0x8000, v7, v6
	s_wait_alu 0xfffd
	v_cndmask_b32_e32 v14, v51, v14, vcc_lo
	v_cmp_eq_u32_e32 vcc_lo, 0x40f, v54
	v_lshl_or_b32 v0, v0, 16, v12
	v_med3_i32 v12, v76, 0, 13
	v_and_b32_e32 v6, 0xffff, v6
	v_and_or_b32 v7, 0x8000, v15, v14
	s_wait_alu 0xfffd
	v_cndmask_b32_e32 v16, v53, v16, vcc_lo
	v_cmp_eq_u32_e32 vcc_lo, 0x40f, v56
	v_lshrrev_b32_e32 v14, 16, v29
	v_lshl_or_b32 v6, v7, 16, v6
	s_delay_alu instid0(VALU_DEP_4)
	v_and_or_b32 v11, 0x8000, v17, v16
	s_wait_alu 0xfffd
	v_cndmask_b32_e32 v18, v55, v18, vcc_lo
	s_clause 0x2
	global_store_b32 v[8:9], v0, off
	global_store_b32 v[22:23], v1, off
	;; [unrolled: 1-line block ×3, first 2 shown]
	v_or_b32_e32 v9, 0x1000, v33
	v_cmp_eq_u32_e32 vcc_lo, 0x40f, v58
	v_and_b32_e32 v11, 0xffff, v11
	v_and_or_b32 v13, 0x8000, v19, v18
	v_lshl_or_b32 v6, v28, 9, 0x7c00
	v_lshrrev_b32_e32 v15, v12, v9
	s_wait_alu 0xfffd
	v_dual_cndmask_b32 v10, v57, v26 :: v_dual_add_nc_u32 v7, 0x200, v32
	v_lshl_or_b32 v11, v13, 16, v11
	v_mul_f64_e32 v[0:1], s[22:23], v[37:38]
	s_wait_loadcnt 0x3
	v_lshrrev_b32_e32 v18, 16, v3
	v_and_or_b32 v10, 0x8000, v27, v10
	global_store_b32 v[24:25], v11, off
	v_lshlrev_b32_e32 v11, v12, v15
	v_and_b32_e32 v19, 0xffff, v10
	s_delay_alu instid0(VALU_DEP_2) | instskip(SKIP_1) | instid1(VALU_DEP_1)
	v_cmp_ne_u32_e64 s1, v11, v9
	s_wait_alu 0xf1ff
	v_cndmask_b32_e64 v11, 0, 1, s1
	s_delay_alu instid0(VALU_DEP_1) | instskip(SKIP_1) | instid1(VALU_DEP_1)
	v_or_b32_e32 v11, v15, v11
	v_add_nc_u32_e32 v62, 0xfffffc10, v62
	v_lshl_or_b32 v86, v62, 12, v30
	v_cmp_gt_i32_e32 vcc_lo, 1, v62
	s_wait_alu 0xfffd
	s_delay_alu instid0(VALU_DEP_2) | instskip(SKIP_2) | instid1(VALU_DEP_2)
	v_cndmask_b32_e32 v8, v86, v61, vcc_lo
	v_cmp_eq_u32_e32 vcc_lo, 0x40f, v60
	s_wait_alu 0xfffd
	v_dual_cndmask_b32 v13, v59, v6 :: v_dual_and_b32 v16, 7, v8
	ds_load_2addr_b32 v[6:7], v7 offset0:124 offset1:160
	v_lshrrev_b32_e32 v12, 2, v8
	v_mul_f64_e32 v[8:9], s[22:23], v[39:40]
	v_cmp_lt_i32_e32 vcc_lo, 5, v16
	v_cmp_eq_u32_e64 s0, 3, v16
	v_and_or_b32 v14, 0x8000, v14, v13
	v_add_nc_u32_e32 v13, 0xfffffc10, v64
	v_and_or_b32 v0, 0x1ff, v1, v0
	v_bfe_u32 v21, v1, 20, 11
	s_or_b32 vcc_lo, s0, vcc_lo
	v_lshl_or_b32 v19, v14, 16, v19
	s_wait_alu 0xfffe
	v_add_co_ci_u32_e32 v12, vcc_lo, 0, v12, vcc_lo
	v_cmp_ne_u32_e32 vcc_lo, 0, v30
	v_lshl_or_b32 v15, v13, 12, v33
	v_cmp_ne_u32_e64 s1, 0, v0
	s_wait_alu 0xfffd
	v_cndmask_b32_e64 v16, 0, 1, vcc_lo
	v_cmp_gt_i32_e32 vcc_lo, 1, v13
	s_wait_dscnt 0x0
	v_lshrrev_b32_e32 v17, 16, v6
	s_wait_alu 0xf1ff
	v_cndmask_b32_e64 v0, 0, 1, s1
	s_wait_alu 0xfffd
	v_cndmask_b32_e32 v15, v15, v11, vcc_lo
	v_cmp_gt_i32_e32 vcc_lo, 31, v62
	s_wait_alu 0xfffd
	s_delay_alu instid0(VALU_DEP_2) | instskip(SKIP_3) | instid1(VALU_DEP_4)
	v_dual_cndmask_b32 v11, 0x7c00, v12 :: v_dual_and_b32 v10, 7, v15
	v_lshl_or_b32 v12, v16, 9, 0x7c00
	v_mul_f16_e32 v16, v17, v18
	v_cmp_eq_u32_e32 vcc_lo, 0x40f, v62
	v_cmp_eq_u32_e64 s0, 3, v10
	s_delay_alu instid0(VALU_DEP_3)
	v_fmac_f16_e32 v16, v6, v3
	s_wait_alu 0xfffd
	v_cndmask_b32_e32 v12, v11, v12, vcc_lo
	v_cmp_lt_i32_e32 vcc_lo, 5, v10
	v_and_or_b32 v8, 0x1ff, v9, v8
	v_mul_f16_e32 v6, v6, v18
	v_cvt_f32_f16_e32 v10, v16
	v_lshrrev_b32_e32 v16, 8, v1
	v_and_or_b32 v20, 0x8000, v20, v12
	v_lshrrev_b32_e32 v12, 2, v15
	v_sub_nc_u32_e32 v15, 0x3f1, v21
	v_cvt_f64_f32_e32 v[10:11], v10
	v_and_or_b32 v0, 0xffe, v16, v0
	s_or_b32 vcc_lo, s0, vcc_lo
	v_fma_f16 v3, v3, v17, -v6
	s_wait_alu 0xfffe
	v_add_co_ci_u32_e32 v12, vcc_lo, 0, v12, vcc_lo
	v_or_b32_e32 v16, 0x1000, v0
	v_med3_i32 v15, v15, 0, 13
	v_cmp_gt_i32_e32 vcc_lo, 31, v13
	v_cvt_f32_f16_e32 v3, v3
	v_lshrrev_b32_e32 v26, 8, v9
	v_bfe_u32 v18, v9, 20, 11
	v_lshrrev_b32_e32 v23, v15, v16
	s_wait_alu 0xfffd
	v_cndmask_b32_e32 v12, 0x7c00, v12, vcc_lo
	v_cmp_ne_u32_e32 vcc_lo, 0, v33
	v_add_nc_u32_e32 v21, 0xfffffc10, v21
	v_sub_nc_u32_e32 v6, 0x3f1, v18
	v_lshlrev_b32_e32 v15, v15, v23
	v_and_b32_e32 v20, 0xffff, v20
	s_wait_alu 0xfffd
	v_cndmask_b32_e64 v22, 0, 1, vcc_lo
	v_cmp_ne_u32_e32 vcc_lo, 0, v8
	v_med3_i32 v6, v6, 0, 13
	v_add_nc_u32_e32 v18, 0xfffffc10, v18
	s_delay_alu instid0(VALU_DEP_4) | instskip(SKIP_4) | instid1(VALU_DEP_3)
	v_lshl_or_b32 v22, v22, 9, 0x7c00
	s_wait_alu 0xfffd
	v_cndmask_b32_e64 v8, 0, 1, vcc_lo
	v_cmp_ne_u32_e32 vcc_lo, v15, v16
	v_cmp_gt_i32_e64 s1, 1, v18
	v_and_or_b32 v8, 0xffe, v26, v8
	s_wait_alu 0xfffd
	v_cndmask_b32_e64 v15, 0, 1, vcc_lo
	v_cmp_eq_u32_e32 vcc_lo, 0x40f, v13
	s_delay_alu instid0(VALU_DEP_3)
	v_or_b32_e32 v16, 0x1000, v8
	s_wait_alu 0xfffd
	v_cndmask_b32_e32 v17, v12, v22, vcc_lo
	v_mul_f64_e32 v[10:11], s[22:23], v[10:11]
	v_cvt_f64_f32_e32 v[12:13], v3
	v_lshrrev_b32_e32 v22, v6, v16
	v_or_b32_e32 v3, v23, v15
	v_lshl_or_b32 v15, v21, 12, v0
	v_cmp_gt_i32_e32 vcc_lo, 1, v21
	v_lshrrev_b32_e32 v23, 16, v34
	s_wait_alu 0xfffd
	s_delay_alu instid0(VALU_DEP_3) | instskip(NEXT) | instid1(VALU_DEP_2)
	v_dual_cndmask_b32 v3, v15, v3 :: v_dual_lshlrev_b32 v6, v6, v22
	v_and_or_b32 v17, 0x8000, v23, v17
	s_delay_alu instid0(VALU_DEP_2) | instskip(SKIP_1) | instid1(VALU_DEP_4)
	v_cmp_ne_u32_e32 vcc_lo, v6, v16
	v_lshl_or_b32 v16, v18, 12, v8
	v_and_b32_e32 v23, 7, v3
	v_lshrrev_b32_e32 v3, 2, v3
	s_wait_alu 0xfffd
	v_cndmask_b32_e64 v6, 0, 1, vcc_lo
	v_add_co_u32 v14, vcc_lo, v24, s20
	s_wait_alu 0xfffd
	v_add_co_ci_u32_e32 v15, vcc_lo, s21, v25, vcc_lo
	v_cmp_lt_i32_e32 vcc_lo, 5, v23
	v_cmp_eq_u32_e64 s0, 3, v23
	v_or_b32_e32 v6, v22, v6
	v_lshrrev_b32_e32 v22, 16, v7
	s_wait_loadcnt 0x2
	v_lshrrev_b32_e32 v24, 16, v2
	v_lshl_or_b32 v20, v17, 16, v20
	s_or_b32 vcc_lo, s0, vcc_lo
	v_cndmask_b32_e64 v6, v16, v6, s1
	s_wait_alu 0xfffe
	v_add_co_ci_u32_e32 v3, vcc_lo, 0, v3, vcc_lo
	v_cmp_ne_u32_e32 vcc_lo, 0, v0
	v_mul_f16_e32 v16, v22, v24
	v_and_b32_e32 v17, 7, v6
	s_wait_alu 0xfffd
	v_cndmask_b32_e64 v0, 0, 1, vcc_lo
	v_and_or_b32 v10, 0x1ff, v11, v10
	v_mul_f64_e32 v[12:13], s[22:23], v[12:13]
	v_cmp_gt_i32_e32 vcc_lo, 31, v21
	v_fmac_f16_e32 v16, v7, v2
	v_lshl_or_b32 v0, v0, 9, 0x7c00
	v_cmp_ne_u32_e64 s1, 0, v10
	v_cmp_eq_u32_e64 s0, 3, v17
	s_wait_alu 0xfffd
	v_cndmask_b32_e32 v3, 0x7c00, v3, vcc_lo
	v_cvt_f32_f16_e32 v16, v16
	v_cmp_lt_i32_e32 vcc_lo, 5, v17
	s_wait_alu 0xf1ff
	v_cndmask_b32_e64 v10, 0, 1, s1
	v_cmp_eq_u32_e64 s1, 0x40f, v21
	v_lshrrev_b32_e32 v23, 8, v11
	v_bfe_u32 v25, v11, 20, 11
	v_cvt_f64_f32_e32 v[16:17], v16
	s_or_b32 vcc_lo, s0, vcc_lo
	v_cndmask_b32_e64 v3, v3, v0, s1
	v_lshrrev_b32_e32 v0, 2, v6
	v_and_or_b32 v10, 0xffe, v23, v10
	v_sub_nc_u32_e32 v6, 0x3f1, v25
	v_lshrrev_b32_e32 v23, 16, v1
	v_lshrrev_b32_e32 v11, 16, v11
	s_wait_alu 0xfffe
	v_add_co_ci_u32_e32 v0, vcc_lo, 0, v0, vcc_lo
	v_cmp_ne_u32_e32 vcc_lo, 0, v8
	v_or_b32_e32 v21, 0x1000, v10
	v_med3_i32 v6, v6, 0, 13
	v_and_or_b32 v23, 0x8000, v23, v3
	s_wait_alu 0xfffd
	v_cndmask_b32_e64 v8, 0, 1, vcc_lo
	v_cmp_gt_i32_e32 vcc_lo, 31, v18
	v_lshrrev_b32_e32 v27, v6, v21
	s_delay_alu instid0(VALU_DEP_3)
	v_lshl_or_b32 v8, v8, 9, 0x7c00
	s_wait_alu 0xfffd
	v_cndmask_b32_e32 v26, 0x7c00, v0, vcc_lo
	v_add_co_u32 v0, vcc_lo, v14, s20
	s_wait_alu 0xfffd
	v_add_co_ci_u32_e32 v1, vcc_lo, s21, v15, vcc_lo
	v_lshlrev_b32_e32 v3, v6, v27
	v_cmp_eq_u32_e32 vcc_lo, 0x40f, v18
	v_and_or_b32 v6, 0x1ff, v13, v12
	v_lshrrev_b32_e32 v12, 16, v9
	s_wait_alu 0xfffd
	v_cndmask_b32_e32 v18, v26, v8, vcc_lo
	v_cmp_ne_u32_e32 vcc_lo, v3, v21
	v_mul_f16_e32 v3, v7, v24
	v_lshrrev_b32_e32 v21, 8, v13
	v_bfe_u32 v24, v13, 20, 11
	v_and_or_b32 v12, 0x8000, v12, v18
	s_wait_alu 0xfffd
	v_cndmask_b32_e64 v8, 0, 1, vcc_lo
	v_cmp_ne_u32_e32 vcc_lo, 0, v6
	v_mul_f64_e32 v[6:7], s[22:23], v[16:17]
	v_fma_f16 v2, v2, v22, -v3
	v_add_nc_u32_e32 v3, 0x400, v32
	v_or_b32_e32 v22, v27, v8
	s_wait_alu 0xfffd
	v_cndmask_b32_e64 v9, 0, 1, vcc_lo
	v_add_nc_u32_e32 v16, 0xfffffc10, v25
	v_lshrrev_b32_e32 v13, 16, v13
	s_delay_alu instid0(VALU_DEP_3)
	v_and_or_b32 v17, 0xffe, v21, v9
	v_sub_nc_u32_e32 v9, 0x3f1, v24
	v_cvt_f32_f16_e32 v21, v2
	v_lshl_or_b32 v25, v16, 12, v10
	v_cmp_gt_i32_e32 vcc_lo, 1, v16
	v_or_b32_e32 v26, 0x1000, v17
	v_med3_i32 v27, v9, 0, 13
	v_cvt_f64_f32_e32 v[8:9], v21
	ds_load_2addr_b32 v[2:3], v3 offset0:68 offset1:104
	s_wait_alu 0xfffd
	v_cndmask_b32_e32 v21, v25, v22, vcc_lo
	global_store_b32 v[14:15], v19, off
	global_store_b32 v[0:1], v20, off
	v_lshrrev_b32_e32 v22, v27, v26
	v_add_co_u32 v0, vcc_lo, v0, s20
	s_wait_alu 0xfffd
	v_add_co_ci_u32_e32 v1, vcc_lo, s21, v1, vcc_lo
	s_delay_alu instid0(VALU_DEP_3) | instskip(SKIP_3) | instid1(VALU_DEP_3)
	v_lshlrev_b32_e32 v14, v27, v22
	s_wait_loadcnt 0x1
	v_lshrrev_b32_e32 v20, 16, v4
	v_cmp_eq_u32_e64 s1, 0x40f, v16
	v_cmp_ne_u32_e64 s0, v14, v26
	s_wait_alu 0xf1ff
	s_delay_alu instid0(VALU_DEP_1) | instskip(SKIP_3) | instid1(VALU_DEP_3)
	v_cndmask_b32_e64 v14, 0, 1, s0
	s_wait_dscnt 0x0
	v_lshrrev_b32_e32 v19, 16, v2
	v_and_or_b32 v6, 0x1ff, v7, v6
	v_or_b32_e32 v14, v22, v14
	v_and_b32_e32 v18, 0xffff, v23
	v_add_nc_u32_e32 v23, 0xfffffc10, v24
	v_mul_f16_e32 v15, v19, v20
	v_lshrrev_b32_e32 v22, 8, v7
	v_bfe_u32 v24, v7, 20, 11
	v_lshl_or_b32 v18, v12, 16, v18
	v_and_b32_e32 v12, 7, v21
	v_fmac_f16_e32 v15, v2, v4
	v_mul_f16_e32 v2, v2, v20
	s_delay_alu instid0(VALU_DEP_3)
	v_cmp_lt_i32_e32 vcc_lo, 5, v12
	v_cmp_eq_u32_e64 s0, 3, v12
	v_lshrrev_b32_e32 v12, 2, v21
	v_lshl_or_b32 v21, v23, 12, v17
	v_cvt_f32_f16_e32 v15, v15
	v_mul_f64_e32 v[8:9], s[22:23], v[8:9]
	s_or_b32 vcc_lo, s0, vcc_lo
	v_fma_f16 v2, v4, v19, -v2
	s_wait_alu 0xfffe
	v_add_co_ci_u32_e32 v12, vcc_lo, 0, v12, vcc_lo
	v_cmp_gt_i32_e32 vcc_lo, 1, v23
	s_wait_loadcnt 0x0
	v_lshrrev_b32_e32 v19, 16, v5
	v_cvt_f32_f16_e32 v2, v2
	s_wait_alu 0xfffd
	v_cndmask_b32_e32 v21, v21, v14, vcc_lo
	v_cmp_ne_u32_e32 vcc_lo, 0, v6
	v_cvt_f64_f32_e32 v[14:15], v15
	s_delay_alu instid0(VALU_DEP_3)
	v_and_b32_e32 v25, 7, v21
	s_wait_alu 0xfffd
	v_cndmask_b32_e64 v6, 0, 1, vcc_lo
	v_cmp_ne_u32_e32 vcc_lo, 0, v10
	v_lshrrev_b32_e32 v21, 2, v21
	v_cmp_eq_u32_e64 s0, 3, v25
	s_delay_alu instid0(VALU_DEP_4)
	v_and_or_b32 v6, 0xffe, v22, v6
	s_wait_alu 0xfffd
	v_cndmask_b32_e64 v10, 0, 1, vcc_lo
	v_cmp_gt_i32_e32 vcc_lo, 31, v16
	v_sub_nc_u32_e32 v22, 0x3f1, v24
	v_add_nc_u32_e32 v24, 0xfffffc10, v24
	v_or_b32_e32 v26, 0x1000, v6
	v_lshl_or_b32 v10, v10, 9, 0x7c00
	s_wait_alu 0xfffd
	v_cndmask_b32_e32 v12, 0x7c00, v12, vcc_lo
	v_cmp_lt_i32_e32 vcc_lo, 5, v25
	v_med3_i32 v22, v22, 0, 13
	s_delay_alu instid0(VALU_DEP_3) | instskip(SKIP_1) | instid1(VALU_DEP_2)
	v_cndmask_b32_e64 v10, v12, v10, s1
	s_or_b32 vcc_lo, s0, vcc_lo
	v_lshrrev_b32_e32 v12, v22, v26
	s_wait_alu 0xfffe
	v_add_co_ci_u32_e32 v16, vcc_lo, 0, v21, vcc_lo
	v_cmp_ne_u32_e32 vcc_lo, 0, v17
	v_and_or_b32 v8, 0x1ff, v9, v8
	v_lshlrev_b32_e32 v21, v22, v12
	v_and_or_b32 v22, 0x8000, v11, v10
	s_wait_alu 0xfffd
	v_cndmask_b32_e64 v17, 0, 1, vcc_lo
	v_cmp_gt_i32_e32 vcc_lo, 31, v23
	s_delay_alu instid0(VALU_DEP_3) | instskip(NEXT) | instid1(VALU_DEP_3)
	v_and_b32_e32 v20, 0xffff, v22
	v_lshl_or_b32 v17, v17, 9, 0x7c00
	s_wait_alu 0xfffd
	v_cndmask_b32_e32 v16, 0x7c00, v16, vcc_lo
	v_cmp_ne_u32_e32 vcc_lo, v21, v26
	v_mul_f64_e32 v[10:11], s[22:23], v[14:15]
	s_wait_alu 0xfffd
	v_cndmask_b32_e64 v21, 0, 1, vcc_lo
	v_cmp_eq_u32_e32 vcc_lo, 0x40f, v23
	s_delay_alu instid0(VALU_DEP_2) | instskip(SKIP_4) | instid1(VALU_DEP_3)
	v_or_b32_e32 v12, v12, v21
	s_wait_alu 0xfffd
	v_cndmask_b32_e32 v16, v16, v17, vcc_lo
	v_lshl_or_b32 v17, v24, 12, v6
	v_cmp_gt_i32_e32 vcc_lo, 1, v24
	v_and_or_b32 v14, 0x8000, v13, v16
	v_lshrrev_b32_e32 v16, 16, v3
	s_wait_alu 0xfffd
	v_cndmask_b32_e32 v4, v17, v12, vcc_lo
	v_cmp_ne_u32_e32 vcc_lo, 0, v8
	v_lshrrev_b32_e32 v12, 8, v9
	v_bfe_u32 v17, v9, 20, 11
	v_mul_f16_e32 v22, v16, v19
	v_and_b32_e32 v15, 7, v4
	s_wait_alu 0xfffd
	v_cndmask_b32_e64 v8, 0, 1, vcc_lo
	v_lshrrev_b32_e32 v4, 2, v4
	v_lshl_or_b32 v20, v14, 16, v20
	v_fmac_f16_e32 v22, v3, v5
	v_cmp_lt_i32_e32 vcc_lo, 5, v15
	v_and_or_b32 v8, 0xffe, v12, v8
	v_cvt_f64_f32_e32 v[12:13], v2
	v_sub_nc_u32_e32 v2, 0x3f1, v17
	v_cmp_eq_u32_e64 s0, 3, v15
	v_cvt_f32_f16_e32 v14, v22
	v_or_b32_e32 v21, 0x1000, v8
	v_mul_f16_e32 v3, v3, v19
	v_med3_i32 v2, v2, 0, 13
	s_or_b32 vcc_lo, s0, vcc_lo
	v_cvt_f64_f32_e32 v[14:15], v14
	s_wait_alu 0xfffe
	v_add_co_ci_u32_e32 v4, vcc_lo, 0, v4, vcc_lo
	v_lshrrev_b32_e32 v23, v2, v21
	v_cmp_ne_u32_e32 vcc_lo, 0, v6
	v_fma_f16 v5, v5, v16, -v3
	v_lshrrev_b32_e32 v9, 16, v9
	s_delay_alu instid0(VALU_DEP_4) | instskip(SKIP_4) | instid1(VALU_DEP_3)
	v_lshlrev_b32_e32 v2, v2, v23
	s_wait_alu 0xfffd
	v_cndmask_b32_e64 v6, 0, 1, vcc_lo
	v_cmp_gt_i32_e32 vcc_lo, 31, v24
	v_cvt_f32_f16_e32 v5, v5
	v_lshl_or_b32 v6, v6, 9, 0x7c00
	s_wait_alu 0xfffd
	v_cndmask_b32_e32 v22, 0x7c00, v4, vcc_lo
	v_and_or_b32 v4, 0x1ff, v11, v10
	v_cmp_ne_u32_e32 vcc_lo, v2, v21
	v_add_nc_u32_e32 v10, 0xfffffc10, v17
	v_lshrrev_b32_e32 v17, 8, v11
	v_bfe_u32 v21, v11, 20, 11
	v_lshrrev_b32_e32 v11, 16, v11
	s_wait_alu 0xfffd
	v_cndmask_b32_e64 v2, 0, 1, vcc_lo
	v_cmp_ne_u32_e32 vcc_lo, 0, v4
	v_lshl_or_b32 v16, v10, 12, v8
	s_delay_alu instid0(VALU_DEP_3) | instskip(SKIP_4) | instid1(VALU_DEP_3)
	v_or_b32_e32 v19, v23, v2
	s_wait_alu 0xfffd
	v_cndmask_b32_e64 v4, 0, 1, vcc_lo
	v_cmp_gt_i32_e32 vcc_lo, 1, v10
	v_mul_f64_e32 v[2:3], s[22:23], v[12:13]
	v_and_or_b32 v17, 0xffe, v17, v4
	v_sub_nc_u32_e32 v4, 0x3f1, v21
	s_wait_alu 0xfffd
	v_cndmask_b32_e32 v12, v16, v19, vcc_lo
	v_cmp_eq_u32_e32 vcc_lo, 0x40f, v24
	v_add_nc_u32_e32 v21, 0xfffffc10, v21
	v_or_b32_e32 v13, 0x1000, v17
	v_med3_i32 v16, v4, 0, 13
	v_and_b32_e32 v23, 7, v12
	v_cvt_f64_f32_e32 v[4:5], v5
	s_wait_alu 0xfffd
	v_cndmask_b32_e32 v19, v22, v6, vcc_lo
	v_lshrrev_b32_e32 v22, 16, v7
	v_lshrrev_b32_e32 v24, v16, v13
	v_add_co_u32 v6, vcc_lo, v0, s20
	s_wait_alu 0xfffd
	v_add_co_ci_u32_e32 v7, vcc_lo, s21, v1, vcc_lo
	v_cmp_lt_i32_e32 vcc_lo, 5, v23
	v_cmp_eq_u32_e64 s0, 3, v23
	v_lshlrev_b32_e32 v16, v16, v24
	v_and_or_b32 v19, 0x8000, v22, v19
	v_lshrrev_b32_e32 v22, 2, v12
	s_delay_alu instid0(VALU_DEP_4) | instskip(NEXT) | instid1(VALU_DEP_3)
	s_or_b32 vcc_lo, s0, vcc_lo
	v_cmp_ne_u32_e64 s1, v16, v13
	v_mul_f64_e32 v[12:13], s[22:23], v[14:15]
	s_wait_alu 0xfffe
	v_add_co_ci_u32_e32 v14, vcc_lo, 0, v22, vcc_lo
	v_cmp_ne_u32_e32 vcc_lo, 0, v8
	s_wait_alu 0xf1ff
	v_cndmask_b32_e64 v16, 0, 1, s1
	s_wait_alu 0xfffd
	v_cndmask_b32_e64 v8, 0, 1, vcc_lo
	v_cmp_gt_i32_e32 vcc_lo, 31, v10
	s_delay_alu instid0(VALU_DEP_3)
	v_or_b32_e32 v15, v24, v16
	v_lshl_or_b32 v16, v21, 12, v17
	v_and_or_b32 v2, 0x1ff, v3, v2
	v_lshl_or_b32 v8, v8, 9, 0x7c00
	s_wait_alu 0xfffd
	v_cndmask_b32_e32 v14, 0x7c00, v14, vcc_lo
	v_cmp_gt_i32_e32 vcc_lo, 1, v21
	s_wait_alu 0xfffd
	v_cndmask_b32_e32 v15, v16, v15, vcc_lo
	v_cmp_eq_u32_e32 vcc_lo, 0x40f, v10
	v_mul_f64_e32 v[4:5], s[22:23], v[4:5]
	v_bfe_u32 v16, v3, 20, 11
	s_delay_alu instid0(VALU_DEP_4)
	v_and_b32_e32 v10, 7, v15
	s_wait_alu 0xfffd
	v_cndmask_b32_e32 v8, v14, v8, vcc_lo
	v_cmp_ne_u32_e32 vcc_lo, 0, v2
	v_lshrrev_b32_e32 v14, 8, v3
	v_lshrrev_b32_e32 v3, 16, v3
	v_cmp_eq_u32_e64 s0, 3, v10
	v_and_or_b32 v8, 0x8000, v9, v8
	v_and_b32_e32 v9, 0xffff, v19
	s_wait_alu 0xfffd
	v_cndmask_b32_e64 v2, 0, 1, vcc_lo
	v_cmp_lt_i32_e32 vcc_lo, 5, v10
	s_delay_alu instid0(VALU_DEP_3) | instskip(SKIP_1) | instid1(VALU_DEP_4)
	v_lshl_or_b32 v10, v8, 16, v9
	v_lshrrev_b32_e32 v8, 2, v15
	v_and_or_b32 v2, 0xffe, v14, v2
	v_sub_nc_u32_e32 v14, 0x3f1, v16
	s_or_b32 vcc_lo, s0, vcc_lo
	v_and_or_b32 v12, 0x1ff, v13, v12
	s_wait_alu 0xfffe
	v_add_co_ci_u32_e32 v8, vcc_lo, 0, v8, vcc_lo
	v_or_b32_e32 v9, 0x1000, v2
	v_med3_i32 v14, v14, 0, 13
	v_cmp_ne_u32_e32 vcc_lo, 0, v17
	v_lshrrev_b32_e32 v19, 8, v13
	v_bfe_u32 v22, v13, 20, 11
	s_delay_alu instid0(VALU_DEP_4) | instskip(SKIP_3) | instid1(VALU_DEP_3)
	v_lshrrev_b32_e32 v17, v14, v9
	s_wait_alu 0xfffd
	v_cndmask_b32_e64 v15, 0, 1, vcc_lo
	v_cmp_gt_i32_e32 vcc_lo, 31, v21
	v_lshlrev_b32_e32 v14, v14, v17
	s_delay_alu instid0(VALU_DEP_3)
	v_lshl_or_b32 v15, v15, 9, 0x7c00
	s_wait_alu 0xfffd
	v_cndmask_b32_e32 v8, 0x7c00, v8, vcc_lo
	v_cmp_ne_u32_e32 vcc_lo, 0, v12
	v_and_or_b32 v4, 0x1ff, v5, v4
	s_wait_alu 0xfffd
	v_cndmask_b32_e64 v12, 0, 1, vcc_lo
	v_cmp_ne_u32_e32 vcc_lo, v14, v9
	v_add_nc_u32_e32 v14, 0xfffffc10, v16
	v_sub_nc_u32_e32 v16, 0x3f1, v22
	s_delay_alu instid0(VALU_DEP_4)
	v_and_or_b32 v12, 0xffe, v19, v12
	s_wait_alu 0xfffd
	v_cndmask_b32_e64 v9, 0, 1, vcc_lo
	v_cmp_eq_u32_e32 vcc_lo, 0x40f, v21
	v_med3_i32 v16, v16, 0, 13
	v_lshrrev_b32_e32 v19, 8, v5
	v_bfe_u32 v21, v5, 20, 11
	v_or_b32_e32 v9, v17, v9
	s_wait_alu 0xfffd
	v_cndmask_b32_e32 v8, v8, v15, vcc_lo
	v_lshl_or_b32 v15, v14, 12, v2
	v_or_b32_e32 v17, 0x1000, v12
	v_cmp_gt_i32_e32 vcc_lo, 1, v14
	v_lshrrev_b32_e32 v5, 16, v5
	v_and_or_b32 v8, 0x8000, v11, v8
	v_sub_nc_u32_e32 v11, 0x3f1, v21
	s_wait_alu 0xfffd
	v_cndmask_b32_e32 v9, v15, v9, vcc_lo
	v_lshrrev_b32_e32 v15, v16, v17
	v_cmp_ne_u32_e32 vcc_lo, 0, v4
	v_med3_i32 v11, v11, 0, 13
	v_and_b32_e32 v8, 0xffff, v8
	v_and_b32_e32 v23, 7, v9
	v_lshlrev_b32_e32 v16, v16, v15
	s_wait_alu 0xfffd
	v_cndmask_b32_e64 v4, 0, 1, vcc_lo
	v_lshrrev_b32_e32 v9, 2, v9
	v_cmp_lt_i32_e32 vcc_lo, 5, v23
	v_cmp_ne_u32_e64 s0, v16, v17
	s_delay_alu instid0(VALU_DEP_4) | instskip(SKIP_2) | instid1(VALU_DEP_3)
	v_and_or_b32 v4, 0xffe, v19, v4
	v_add_nc_u32_e32 v19, 0xfffffc10, v22
	s_wait_alu 0xf1ff
	v_cndmask_b32_e64 v16, 0, 1, s0
	v_cmp_eq_u32_e64 s0, 3, v23
	v_or_b32_e32 v17, 0x1000, v4
	v_lshl_or_b32 v22, v19, 12, v12
	s_delay_alu instid0(VALU_DEP_4) | instskip(NEXT) | instid1(VALU_DEP_4)
	v_or_b32_e32 v15, v15, v16
	s_or_b32 vcc_lo, s0, vcc_lo
	s_delay_alu instid0(VALU_DEP_3) | instskip(SKIP_3) | instid1(VALU_DEP_3)
	v_lshrrev_b32_e32 v16, v11, v17
	s_wait_alu 0xfffe
	v_add_co_ci_u32_e32 v9, vcc_lo, 0, v9, vcc_lo
	v_cmp_gt_i32_e32 vcc_lo, 1, v19
	v_lshlrev_b32_e32 v11, v11, v16
	s_wait_alu 0xfffd
	v_cndmask_b32_e32 v15, v22, v15, vcc_lo
	v_cmp_ne_u32_e32 vcc_lo, 0, v2
	s_wait_alu 0xfffd
	v_cndmask_b32_e64 v2, 0, 1, vcc_lo
	v_cmp_ne_u32_e32 vcc_lo, v11, v17
	v_add_nc_u32_e32 v17, 0xfffffc10, v21
	v_and_b32_e32 v21, 7, v15
	s_delay_alu instid0(VALU_DEP_4)
	v_lshl_or_b32 v2, v2, 9, 0x7c00
	s_wait_alu 0xfffd
	v_cndmask_b32_e64 v11, 0, 1, vcc_lo
	v_cmp_gt_i32_e32 vcc_lo, 31, v14
	v_cmp_gt_i32_e64 s1, 1, v17
	v_cmp_eq_u32_e64 s0, 3, v21
	s_delay_alu instid0(VALU_DEP_4)
	v_or_b32_e32 v11, v16, v11
	s_wait_alu 0xfffd
	v_cndmask_b32_e32 v9, 0x7c00, v9, vcc_lo
	v_lshl_or_b32 v16, v17, 12, v4
	v_cmp_lt_i32_e32 vcc_lo, 5, v21
	s_wait_alu 0xf1ff
	s_delay_alu instid0(VALU_DEP_2) | instskip(SKIP_2) | instid1(VALU_DEP_2)
	v_cndmask_b32_e64 v11, v16, v11, s1
	v_cmp_eq_u32_e64 s1, 0x40f, v14
	s_or_b32 vcc_lo, s0, vcc_lo
	v_and_b32_e32 v14, 7, v11
	s_delay_alu instid0(VALU_DEP_2)
	v_cndmask_b32_e64 v2, v9, v2, s1
	v_lshrrev_b32_e32 v9, 2, v15
	v_lshrrev_b32_e32 v11, 2, v11
	v_cmp_gt_i32_e64 s1, 31, v19
	v_cmp_eq_u32_e64 s0, 3, v14
	s_wait_alu 0xfffe
	v_add_co_ci_u32_e32 v9, vcc_lo, 0, v9, vcc_lo
	v_cmp_ne_u32_e32 vcc_lo, 0, v12
	s_wait_alu 0xf1ff
	s_delay_alu instid0(VALU_DEP_2) | instskip(SKIP_3) | instid1(VALU_DEP_2)
	v_cndmask_b32_e64 v9, 0x7c00, v9, s1
	s_wait_alu 0xfffd
	v_cndmask_b32_e64 v12, 0, 1, vcc_lo
	v_cmp_lt_i32_e32 vcc_lo, 5, v14
	v_lshl_or_b32 v12, v12, 9, 0x7c00
	s_or_b32 vcc_lo, s0, vcc_lo
	s_wait_alu 0xfffe
	v_add_co_ci_u32_e32 v11, vcc_lo, 0, v11, vcc_lo
	v_cmp_ne_u32_e32 vcc_lo, 0, v4
	s_wait_alu 0xfffd
	v_cndmask_b32_e64 v4, 0, 1, vcc_lo
	v_cmp_eq_u32_e32 vcc_lo, 0x40f, v19
	s_delay_alu instid0(VALU_DEP_2)
	v_lshl_or_b32 v4, v4, 9, 0x7c00
	s_wait_alu 0xfffd
	v_cndmask_b32_e32 v9, v9, v12, vcc_lo
	v_cmp_gt_i32_e32 vcc_lo, 31, v17
	v_lshrrev_b32_e32 v12, 16, v13
	v_and_or_b32 v13, 0x8000, v3, v2
	s_wait_alu 0xfffd
	v_cndmask_b32_e32 v11, 0x7c00, v11, vcc_lo
	v_cmp_eq_u32_e32 vcc_lo, 0x40f, v17
	v_and_or_b32 v9, 0x8000, v12, v9
	s_wait_alu 0xfffd
	s_delay_alu instid0(VALU_DEP_3)
	v_cndmask_b32_e32 v4, v11, v4, vcc_lo
	v_add_co_u32 v2, vcc_lo, v6, s20
	s_wait_alu 0xfffd
	v_add_co_ci_u32_e32 v3, vcc_lo, s21, v7, vcc_lo
	v_lshl_or_b32 v11, v13, 16, v8
	v_and_or_b32 v8, 0x8000, v5, v4
	v_and_b32_e32 v9, 0xffff, v9
	v_add_co_u32 v4, vcc_lo, v2, s20
	s_wait_alu 0xfffd
	v_add_co_ci_u32_e32 v5, vcc_lo, s21, v3, vcc_lo
	s_delay_alu instid0(VALU_DEP_3) | instskip(NEXT) | instid1(VALU_DEP_3)
	v_lshl_or_b32 v12, v8, 16, v9
	v_add_co_u32 v8, vcc_lo, v4, s20
	s_wait_alu 0xfffd
	s_delay_alu instid0(VALU_DEP_3)
	v_add_co_ci_u32_e32 v9, vcc_lo, s21, v5, vcc_lo
	global_store_b32 v[0:1], v18, off
	global_store_b32 v[6:7], v20, off
	;; [unrolled: 1-line block ×5, first 2 shown]
.LBB0_23:
	s_nop 0
	s_sendmsg sendmsg(MSG_DEALLOC_VGPRS)
	s_endpgm
	.section	.rodata,"a",@progbits
	.p2align	6, 0x0
	.amdhsa_kernel bluestein_single_fwd_len396_dim1_half_op_CI_CI
		.amdhsa_group_segment_fixed_size 1584
		.amdhsa_private_segment_fixed_size 0
		.amdhsa_kernarg_size 104
		.amdhsa_user_sgpr_count 2
		.amdhsa_user_sgpr_dispatch_ptr 0
		.amdhsa_user_sgpr_queue_ptr 0
		.amdhsa_user_sgpr_kernarg_segment_ptr 1
		.amdhsa_user_sgpr_dispatch_id 0
		.amdhsa_user_sgpr_private_segment_size 0
		.amdhsa_wavefront_size32 1
		.amdhsa_uses_dynamic_stack 0
		.amdhsa_enable_private_segment 0
		.amdhsa_system_sgpr_workgroup_id_x 1
		.amdhsa_system_sgpr_workgroup_id_y 0
		.amdhsa_system_sgpr_workgroup_id_z 0
		.amdhsa_system_sgpr_workgroup_info 0
		.amdhsa_system_vgpr_workitem_id 0
		.amdhsa_next_free_vgpr 154
		.amdhsa_next_free_sgpr 24
		.amdhsa_reserve_vcc 1
		.amdhsa_float_round_mode_32 0
		.amdhsa_float_round_mode_16_64 0
		.amdhsa_float_denorm_mode_32 3
		.amdhsa_float_denorm_mode_16_64 3
		.amdhsa_fp16_overflow 0
		.amdhsa_workgroup_processor_mode 1
		.amdhsa_memory_ordered 1
		.amdhsa_forward_progress 0
		.amdhsa_round_robin_scheduling 0
		.amdhsa_exception_fp_ieee_invalid_op 0
		.amdhsa_exception_fp_denorm_src 0
		.amdhsa_exception_fp_ieee_div_zero 0
		.amdhsa_exception_fp_ieee_overflow 0
		.amdhsa_exception_fp_ieee_underflow 0
		.amdhsa_exception_fp_ieee_inexact 0
		.amdhsa_exception_int_div_zero 0
	.end_amdhsa_kernel
	.text
.Lfunc_end0:
	.size	bluestein_single_fwd_len396_dim1_half_op_CI_CI, .Lfunc_end0-bluestein_single_fwd_len396_dim1_half_op_CI_CI
                                        ; -- End function
	.section	.AMDGPU.csdata,"",@progbits
; Kernel info:
; codeLenInByte = 18280
; NumSgprs: 26
; NumVgprs: 154
; ScratchSize: 0
; MemoryBound: 0
; FloatMode: 240
; IeeeMode: 1
; LDSByteSize: 1584 bytes/workgroup (compile time only)
; SGPRBlocks: 3
; VGPRBlocks: 19
; NumSGPRsForWavesPerEU: 26
; NumVGPRsForWavesPerEU: 154
; Occupancy: 9
; WaveLimiterHint : 1
; COMPUTE_PGM_RSRC2:SCRATCH_EN: 0
; COMPUTE_PGM_RSRC2:USER_SGPR: 2
; COMPUTE_PGM_RSRC2:TRAP_HANDLER: 0
; COMPUTE_PGM_RSRC2:TGID_X_EN: 1
; COMPUTE_PGM_RSRC2:TGID_Y_EN: 0
; COMPUTE_PGM_RSRC2:TGID_Z_EN: 0
; COMPUTE_PGM_RSRC2:TIDIG_COMP_CNT: 0
	.text
	.p2alignl 7, 3214868480
	.fill 96, 4, 3214868480
	.type	__hip_cuid_d534ff937700a08c,@object ; @__hip_cuid_d534ff937700a08c
	.section	.bss,"aw",@nobits
	.globl	__hip_cuid_d534ff937700a08c
__hip_cuid_d534ff937700a08c:
	.byte	0                               ; 0x0
	.size	__hip_cuid_d534ff937700a08c, 1

	.ident	"AMD clang version 19.0.0git (https://github.com/RadeonOpenCompute/llvm-project roc-6.4.0 25133 c7fe45cf4b819c5991fe208aaa96edf142730f1d)"
	.section	".note.GNU-stack","",@progbits
	.addrsig
	.addrsig_sym __hip_cuid_d534ff937700a08c
	.amdgpu_metadata
---
amdhsa.kernels:
  - .args:
      - .actual_access:  read_only
        .address_space:  global
        .offset:         0
        .size:           8
        .value_kind:     global_buffer
      - .actual_access:  read_only
        .address_space:  global
        .offset:         8
        .size:           8
        .value_kind:     global_buffer
      - .actual_access:  read_only
        .address_space:  global
        .offset:         16
        .size:           8
        .value_kind:     global_buffer
      - .actual_access:  read_only
        .address_space:  global
        .offset:         24
        .size:           8
        .value_kind:     global_buffer
      - .actual_access:  read_only
        .address_space:  global
        .offset:         32
        .size:           8
        .value_kind:     global_buffer
      - .offset:         40
        .size:           8
        .value_kind:     by_value
      - .address_space:  global
        .offset:         48
        .size:           8
        .value_kind:     global_buffer
      - .address_space:  global
        .offset:         56
        .size:           8
        .value_kind:     global_buffer
      - .address_space:  global
        .offset:         64
        .size:           8
        .value_kind:     global_buffer
      - .address_space:  global
        .offset:         72
        .size:           8
        .value_kind:     global_buffer
      - .offset:         80
        .size:           4
        .value_kind:     by_value
      - .address_space:  global
        .offset:         88
        .size:           8
        .value_kind:     global_buffer
      - .address_space:  global
        .offset:         96
        .size:           8
        .value_kind:     global_buffer
    .group_segment_fixed_size: 1584
    .kernarg_segment_align: 8
    .kernarg_segment_size: 104
    .language:       OpenCL C
    .language_version:
      - 2
      - 0
    .max_flat_workgroup_size: 44
    .name:           bluestein_single_fwd_len396_dim1_half_op_CI_CI
    .private_segment_fixed_size: 0
    .sgpr_count:     26
    .sgpr_spill_count: 0
    .symbol:         bluestein_single_fwd_len396_dim1_half_op_CI_CI.kd
    .uniform_work_group_size: 1
    .uses_dynamic_stack: false
    .vgpr_count:     154
    .vgpr_spill_count: 0
    .wavefront_size: 32
    .workgroup_processor_mode: 1
amdhsa.target:   amdgcn-amd-amdhsa--gfx1201
amdhsa.version:
  - 1
  - 2
...

	.end_amdgpu_metadata
